;; amdgpu-corpus repo=ROCm/rocFFT kind=compiled arch=gfx950 opt=O3
	.text
	.amdgcn_target "amdgcn-amd-amdhsa--gfx950"
	.amdhsa_code_object_version 6
	.protected	fft_rtc_back_len595_factors_7_17_5_wgs_51_tpt_17_halfLds_half_ip_CI_sbrr_dirReg ; -- Begin function fft_rtc_back_len595_factors_7_17_5_wgs_51_tpt_17_halfLds_half_ip_CI_sbrr_dirReg
	.globl	fft_rtc_back_len595_factors_7_17_5_wgs_51_tpt_17_halfLds_half_ip_CI_sbrr_dirReg
	.p2align	8
	.type	fft_rtc_back_len595_factors_7_17_5_wgs_51_tpt_17_halfLds_half_ip_CI_sbrr_dirReg,@function
fft_rtc_back_len595_factors_7_17_5_wgs_51_tpt_17_halfLds_half_ip_CI_sbrr_dirReg: ; @fft_rtc_back_len595_factors_7_17_5_wgs_51_tpt_17_halfLds_half_ip_CI_sbrr_dirReg
; %bb.0:
	s_load_dwordx2 s[12:13], s[0:1], 0x18
	s_load_dwordx4 s[4:7], s[0:1], 0x0
	s_load_dwordx2 s[10:11], s[0:1], 0x50
	v_mul_u32_u24_e32 v1, 0xf10, v0
	v_lshrrev_b32_e32 v2, 16, v1
	s_waitcnt lgkmcnt(0)
	s_load_dwordx2 s[8:9], s[12:13], 0x0
	v_mad_u64_u32 v[2:3], s[2:3], s2, 3, v[2:3]
	v_mov_b32_e32 v6, 0
	v_mov_b32_e32 v3, v6
	v_cmp_lt_u64_e64 s[2:3], s[6:7], 2
	s_and_b64 vcc, exec, s[2:3]
	v_mov_b64_e32 v[4:5], 0
	v_mov_b64_e32 v[10:11], v[2:3]
	s_cbranch_vccnz .LBB0_8
; %bb.1:
	s_load_dwordx2 s[2:3], s[0:1], 0x10
	s_add_u32 s14, s12, 8
	s_addc_u32 s15, s13, 0
	s_mov_b64 s[16:17], 1
	v_mov_b64_e32 v[4:5], 0
	s_waitcnt lgkmcnt(0)
	s_add_u32 s18, s2, 8
	s_addc_u32 s19, s3, 0
	v_mov_b64_e32 v[8:9], v[2:3]
.LBB0_2:                                ; =>This Inner Loop Header: Depth=1
	s_load_dwordx2 s[20:21], s[18:19], 0x0
                                        ; implicit-def: $vgpr10_vgpr11
	s_waitcnt lgkmcnt(0)
	v_or_b32_e32 v7, s21, v9
	v_cmp_ne_u64_e32 vcc, 0, v[6:7]
	s_and_saveexec_b64 s[2:3], vcc
	s_xor_b64 s[22:23], exec, s[2:3]
	s_cbranch_execz .LBB0_4
; %bb.3:                                ;   in Loop: Header=BB0_2 Depth=1
	v_cvt_f32_u32_e32 v1, s20
	v_cvt_f32_u32_e32 v3, s21
	s_sub_u32 s2, 0, s20
	s_subb_u32 s3, 0, s21
	v_fmac_f32_e32 v1, 0x4f800000, v3
	v_rcp_f32_e32 v1, v1
	s_nop 0
	v_mul_f32_e32 v1, 0x5f7ffffc, v1
	v_mul_f32_e32 v3, 0x2f800000, v1
	v_trunc_f32_e32 v3, v3
	v_fmac_f32_e32 v1, 0xcf800000, v3
	v_cvt_u32_f32_e32 v3, v3
	v_cvt_u32_f32_e32 v1, v1
	v_mul_lo_u32 v7, s2, v3
	v_mul_hi_u32 v10, s2, v1
	v_mul_lo_u32 v11, s3, v1
	v_add_u32_e32 v7, v10, v7
	v_mul_lo_u32 v14, s2, v1
	v_add_u32_e32 v7, v7, v11
	v_mul_hi_u32 v10, v1, v14
	v_mul_hi_u32 v13, v1, v7
	v_mul_lo_u32 v12, v1, v7
	v_mov_b32_e32 v11, v6
	v_lshl_add_u64 v[10:11], v[10:11], 0, v[12:13]
	v_mul_hi_u32 v13, v3, v14
	v_mul_lo_u32 v14, v3, v14
	v_add_co_u32_e32 v10, vcc, v10, v14
	v_mul_hi_u32 v12, v3, v7
	s_nop 0
	v_addc_co_u32_e32 v10, vcc, v11, v13, vcc
	v_mov_b32_e32 v11, v6
	s_nop 0
	v_addc_co_u32_e32 v13, vcc, 0, v12, vcc
	v_mul_lo_u32 v12, v3, v7
	v_lshl_add_u64 v[10:11], v[10:11], 0, v[12:13]
	v_add_co_u32_e32 v1, vcc, v1, v10
	v_mul_hi_u32 v10, s2, v1
	s_nop 0
	v_addc_co_u32_e32 v3, vcc, v3, v11, vcc
	v_mul_lo_u32 v7, s2, v3
	v_add_u32_e32 v7, v10, v7
	v_mul_lo_u32 v10, s3, v1
	v_add_u32_e32 v7, v7, v10
	v_mul_lo_u32 v12, s2, v1
	v_mul_hi_u32 v15, v3, v12
	v_mul_lo_u32 v16, v3, v12
	v_mul_hi_u32 v11, v1, v7
	;; [unrolled: 2-line block ×3, first 2 shown]
	v_mov_b32_e32 v13, v6
	v_lshl_add_u64 v[10:11], v[12:13], 0, v[10:11]
	v_add_co_u32_e32 v10, vcc, v10, v16
	v_mul_hi_u32 v14, v3, v7
	s_nop 0
	v_addc_co_u32_e32 v10, vcc, v11, v15, vcc
	v_mul_lo_u32 v12, v3, v7
	s_nop 0
	v_addc_co_u32_e32 v13, vcc, 0, v14, vcc
	v_mov_b32_e32 v11, v6
	v_lshl_add_u64 v[10:11], v[10:11], 0, v[12:13]
	v_add_co_u32_e32 v1, vcc, v1, v10
	v_mul_hi_u32 v12, v8, v1
	s_nop 0
	v_addc_co_u32_e32 v3, vcc, v3, v11, vcc
	v_mad_u64_u32 v[10:11], s[2:3], v8, v3, 0
	v_mov_b32_e32 v13, v6
	v_lshl_add_u64 v[10:11], v[12:13], 0, v[10:11]
	v_mad_u64_u32 v[14:15], s[2:3], v9, v1, 0
	v_add_co_u32_e32 v1, vcc, v10, v14
	v_mad_u64_u32 v[12:13], s[2:3], v9, v3, 0
	s_nop 0
	v_addc_co_u32_e32 v10, vcc, v11, v15, vcc
	v_mov_b32_e32 v11, v6
	s_nop 0
	v_addc_co_u32_e32 v13, vcc, 0, v13, vcc
	v_lshl_add_u64 v[10:11], v[10:11], 0, v[12:13]
	v_mul_lo_u32 v1, s21, v10
	v_mul_lo_u32 v3, s20, v11
	v_mad_u64_u32 v[12:13], s[2:3], s20, v10, 0
	v_add3_u32 v1, v13, v3, v1
	v_sub_u32_e32 v3, v9, v1
	v_mov_b32_e32 v7, s21
	v_sub_co_u32_e32 v16, vcc, v8, v12
	v_lshl_add_u64 v[14:15], v[10:11], 0, 1
	s_nop 0
	v_subb_co_u32_e64 v3, s[2:3], v3, v7, vcc
	v_subrev_co_u32_e64 v7, s[2:3], s20, v16
	v_subb_co_u32_e32 v1, vcc, v9, v1, vcc
	s_nop 0
	v_subbrev_co_u32_e64 v3, s[2:3], 0, v3, s[2:3]
	v_cmp_le_u32_e64 s[2:3], s21, v3
	v_cmp_le_u32_e32 vcc, s21, v1
	s_nop 0
	v_cndmask_b32_e64 v12, 0, -1, s[2:3]
	v_cmp_le_u32_e64 s[2:3], s20, v7
	s_nop 1
	v_cndmask_b32_e64 v7, 0, -1, s[2:3]
	v_cmp_eq_u32_e64 s[2:3], s21, v3
	s_nop 1
	v_cndmask_b32_e64 v3, v12, v7, s[2:3]
	v_lshl_add_u64 v[12:13], v[10:11], 0, 2
	v_cmp_ne_u32_e64 s[2:3], 0, v3
	v_cndmask_b32_e64 v7, 0, -1, vcc
	v_cmp_le_u32_e32 vcc, s20, v16
	v_cndmask_b32_e64 v3, v15, v13, s[2:3]
	s_nop 0
	v_cndmask_b32_e64 v13, 0, -1, vcc
	v_cmp_eq_u32_e32 vcc, s21, v1
	s_nop 1
	v_cndmask_b32_e32 v1, v7, v13, vcc
	v_cmp_ne_u32_e32 vcc, 0, v1
	v_cndmask_b32_e64 v1, v14, v12, s[2:3]
	s_nop 0
	v_cndmask_b32_e32 v11, v11, v3, vcc
	v_cndmask_b32_e32 v10, v10, v1, vcc
.LBB0_4:                                ;   in Loop: Header=BB0_2 Depth=1
	s_andn2_saveexec_b64 s[2:3], s[22:23]
	s_cbranch_execz .LBB0_6
; %bb.5:                                ;   in Loop: Header=BB0_2 Depth=1
	v_cvt_f32_u32_e32 v1, s20
	s_sub_i32 s22, 0, s20
	v_mov_b32_e32 v11, v6
	v_rcp_iflag_f32_e32 v1, v1
	s_nop 0
	v_mul_f32_e32 v1, 0x4f7ffffe, v1
	v_cvt_u32_f32_e32 v1, v1
	v_mul_lo_u32 v3, s22, v1
	v_mul_hi_u32 v3, v1, v3
	v_add_u32_e32 v1, v1, v3
	v_mul_hi_u32 v1, v8, v1
	v_mul_lo_u32 v3, v1, s20
	v_sub_u32_e32 v3, v8, v3
	v_add_u32_e32 v7, 1, v1
	v_subrev_u32_e32 v10, s20, v3
	v_cmp_le_u32_e32 vcc, s20, v3
	s_nop 1
	v_cndmask_b32_e32 v3, v3, v10, vcc
	v_cndmask_b32_e32 v1, v1, v7, vcc
	v_add_u32_e32 v7, 1, v1
	v_cmp_le_u32_e32 vcc, s20, v3
	s_nop 1
	v_cndmask_b32_e32 v10, v1, v7, vcc
.LBB0_6:                                ;   in Loop: Header=BB0_2 Depth=1
	s_or_b64 exec, exec, s[2:3]
	v_mad_u64_u32 v[12:13], s[2:3], v10, s20, 0
	s_load_dwordx2 s[2:3], s[14:15], 0x0
	s_add_u32 s16, s16, 1
	v_mul_lo_u32 v1, v11, s20
	v_mul_lo_u32 v3, v10, s21
	s_addc_u32 s17, s17, 0
	v_add3_u32 v1, v13, v3, v1
	v_sub_co_u32_e32 v3, vcc, v8, v12
	s_add_u32 s14, s14, 8
	s_nop 0
	v_subb_co_u32_e32 v1, vcc, v9, v1, vcc
	s_addc_u32 s15, s15, 0
	v_mov_b64_e32 v[8:9], s[6:7]
	s_waitcnt lgkmcnt(0)
	v_mul_lo_u32 v1, s2, v1
	v_mul_lo_u32 v7, s3, v3
	v_mad_u64_u32 v[4:5], s[2:3], s2, v3, v[4:5]
	s_add_u32 s18, s18, 8
	v_cmp_ge_u64_e32 vcc, s[16:17], v[8:9]
	v_add3_u32 v5, v7, v5, v1
	s_addc_u32 s19, s19, 0
	s_cbranch_vccnz .LBB0_8
; %bb.7:                                ;   in Loop: Header=BB0_2 Depth=1
	v_mov_b64_e32 v[8:9], v[10:11]
	s_branch .LBB0_2
.LBB0_8:
	s_lshl_b64 s[2:3], s[6:7], 3
	s_add_u32 s2, s12, s2
	s_addc_u32 s3, s13, s3
	s_load_dwordx2 s[6:7], s[2:3], 0x0
	s_load_dwordx2 s[12:13], s[0:1], 0x20
	s_mov_b32 s2, 0xf0f0f10
                                        ; implicit-def: $vgpr14
                                        ; implicit-def: $vgpr15
                                        ; implicit-def: $vgpr17
                                        ; implicit-def: $vgpr16
	s_waitcnt lgkmcnt(0)
	v_mul_lo_u32 v1, s6, v11
	v_mul_lo_u32 v3, s7, v10
	v_mad_u64_u32 v[4:5], s[0:1], s6, v10, v[4:5]
	v_add3_u32 v5, v3, v5, v1
	v_mul_hi_u32 v1, v0, s2
	v_mul_u32_u24_e32 v1, 17, v1
	v_cmp_gt_u64_e32 vcc, s[12:13], v[10:11]
	v_cmp_le_u64_e64 s[0:1], s[12:13], v[10:11]
	v_sub_u32_e32 v10, v0, v1
	v_add_u32_e32 v13, 17, v10
	v_add_u32_e32 v12, 34, v10
	;; [unrolled: 1-line block ×3, first 2 shown]
                                        ; implicit-def: $sgpr2
	s_and_saveexec_b64 s[6:7], s[0:1]
	s_xor_b64 s[0:1], exec, s[6:7]
; %bb.9:
	v_add_u32_e32 v14, 17, v10
	v_add_u32_e32 v15, 34, v10
	;; [unrolled: 1-line block ×4, first 2 shown]
	s_mov_b32 s2, 0
; %bb.10:
	s_or_saveexec_b64 s[0:1], s[0:1]
	v_mov_b32_e32 v6, s2
	v_lshl_add_u64 v[8:9], v[4:5], 2, s[10:11]
	v_mov_b32_e32 v1, s2
	v_mov_b32_e32 v22, s2
	;; [unrolled: 1-line block ×19, first 2 shown]
                                        ; implicit-def: $vgpr71
                                        ; implicit-def: $vgpr4
                                        ; implicit-def: $vgpr72
                                        ; implicit-def: $vgpr28
                                        ; implicit-def: $vgpr60
                                        ; implicit-def: $vgpr76
                                        ; implicit-def: $vgpr23
                                        ; implicit-def: $vgpr77
                                        ; implicit-def: $vgpr36
                                        ; implicit-def: $vgpr20
                                        ; implicit-def: $vgpr35
                                        ; implicit-def: $vgpr27
                                        ; implicit-def: $vgpr29
                                        ; implicit-def: $vgpr39
                                        ; implicit-def: $vgpr40
                                        ; implicit-def: $vgpr52
                                        ; implicit-def: $vgpr53
                                        ; implicit-def: $vgpr70
                                        ; implicit-def: $vgpr75
	s_xor_b64 exec, exec, s[0:1]
	s_cbranch_execz .LBB0_12
; %bb.11:
	v_mad_u64_u32 v[0:1], s[2:3], s8, v10, 0
	v_mov_b32_e32 v4, v1
	v_mad_u64_u32 v[4:5], s[2:3], s9, v10, v[4:5]
	v_mov_b32_e32 v1, v4
	v_add_u32_e32 v3, 0x55, v10
	v_lshl_add_u64 v[14:15], v[0:1], 2, v[8:9]
	v_mad_u64_u32 v[0:1], s[2:3], s8, v3, 0
	v_mov_b32_e32 v4, v1
	v_mad_u64_u32 v[4:5], s[2:3], s9, v3, v[4:5]
	v_mov_b32_e32 v1, v4
	v_add_u32_e32 v3, 0xaa, v10
	v_lshl_add_u64 v[16:17], v[0:1], 2, v[8:9]
	;; [unrolled: 6-line block ×6, first 2 shown]
	v_mad_u64_u32 v[0:1], s[2:3], s8, v3, 0
	v_mov_b32_e32 v4, v1
	v_mad_u64_u32 v[4:5], s[2:3], s9, v3, v[4:5]
	v_mov_b32_e32 v1, v4
	v_lshl_add_u64 v[28:29], v[0:1], 2, v[8:9]
	v_mad_u64_u32 v[0:1], s[2:3], s8, v13, 0
	v_mov_b32_e32 v4, v1
	v_mad_u64_u32 v[4:5], s[2:3], s9, v13, v[4:5]
	v_mov_b32_e32 v1, v4
	v_add_u32_e32 v3, 0x66, v10
	v_lshl_add_u64 v[30:31], v[0:1], 2, v[8:9]
	global_load_dword v1, v[14:15], off
	global_load_dword v6, v[16:17], off
	;; [unrolled: 1-line block ×8, first 2 shown]
	v_mad_u64_u32 v[14:15], s[2:3], s8, v3, 0
	v_mov_b32_e32 v16, v15
	v_mad_u64_u32 v[16:17], s[2:3], s9, v3, v[16:17]
	v_add_u32_e32 v3, 0xbb, v10
	v_mov_b32_e32 v15, v16
	v_mad_u64_u32 v[16:17], s[2:3], s8, v3, 0
	v_mov_b32_e32 v20, v17
	v_mad_u64_u32 v[20:21], s[2:3], s9, v3, v[20:21]
	v_add_u32_e32 v3, 0x110, v10
	v_mov_b32_e32 v17, v20
	;; [unrolled: 5-line block ×3, first 2 shown]
	v_mad_u64_u32 v[22:23], s[2:3], s8, v3, 0
	v_mov_b32_e32 v24, v23
	v_mad_u64_u32 v[24:25], s[2:3], s9, v3, v[24:25]
	v_mov_b32_e32 v23, v24
	v_add_u32_e32 v3, 0x1ba, v10
	v_lshl_add_u64 v[28:29], v[22:23], 2, v[8:9]
	v_mad_u64_u32 v[22:23], s[2:3], s8, v3, 0
	v_mov_b32_e32 v24, v23
	v_mad_u64_u32 v[24:25], s[2:3], s9, v3, v[24:25]
	v_mov_b32_e32 v23, v24
	v_add_u32_e32 v3, 0x20f, v10
	v_lshl_add_u64 v[30:31], v[22:23], 2, v[8:9]
	v_mad_u64_u32 v[22:23], s[2:3], s8, v3, 0
	v_mov_b32_e32 v24, v23
	v_mad_u64_u32 v[24:25], s[2:3], s9, v3, v[24:25]
	v_mov_b32_e32 v23, v24
	v_lshl_add_u64 v[32:33], v[22:23], 2, v[8:9]
	v_mad_u64_u32 v[22:23], s[2:3], s8, v12, 0
	v_mov_b32_e32 v24, v23
	v_mad_u64_u32 v[24:25], s[2:3], s9, v12, v[24:25]
	v_mov_b32_e32 v23, v24
	v_add_u32_e32 v3, 0x77, v10
	v_lshl_add_u64 v[34:35], v[22:23], 2, v[8:9]
	v_mad_u64_u32 v[22:23], s[2:3], s8, v3, 0
	v_mov_b32_e32 v24, v23
	v_mad_u64_u32 v[24:25], s[2:3], s9, v3, v[24:25]
	v_lshl_add_u64 v[14:15], v[14:15], 2, v[8:9]
	v_mov_b32_e32 v23, v24
	v_add_u32_e32 v5, 0xcc, v10
	v_lshl_add_u64 v[16:17], v[16:17], 2, v[8:9]
	v_lshl_add_u64 v[20:21], v[20:21], 2, v[8:9]
	;; [unrolled: 1-line block ×3, first 2 shown]
	global_load_dword v22, v[14:15], off
	global_load_dword v26, v[16:17], off
	;; [unrolled: 1-line block ×8, first 2 shown]
	v_mad_u64_u32 v[14:15], s[2:3], s8, v5, 0
	v_mov_b32_e32 v16, v15
	v_mad_u64_u32 v[16:17], s[2:3], s9, v5, v[16:17]
	v_add_u32_e32 v5, 0x121, v10
	v_mov_b32_e32 v15, v16
	v_mad_u64_u32 v[16:17], s[2:3], s8, v5, 0
	v_mov_b32_e32 v20, v17
	v_mad_u64_u32 v[20:21], s[2:3], s9, v5, v[20:21]
	v_add_u32_e32 v5, 0x176, v10
	v_mov_b32_e32 v17, v20
	;; [unrolled: 5-line block ×3, first 2 shown]
	v_mad_u64_u32 v[28:29], s[2:3], s8, v5, 0
	v_mov_b32_e32 v30, v29
	v_mad_u64_u32 v[30:31], s[2:3], s9, v5, v[30:31]
	v_mov_b32_e32 v29, v30
	v_or_b32_e32 v5, 0x220, v10
	v_lshl_add_u64 v[38:39], v[28:29], 2, v[8:9]
	v_mad_u64_u32 v[28:29], s[2:3], s8, v5, 0
	v_mov_b32_e32 v30, v29
	v_mad_u64_u32 v[30:31], s[2:3], s9, v5, v[30:31]
	v_mov_b32_e32 v29, v30
	v_lshl_add_u64 v[40:41], v[28:29], 2, v[8:9]
	v_mad_u64_u32 v[28:29], s[2:3], s8, v11, 0
	v_mov_b32_e32 v30, v29
	v_mad_u64_u32 v[30:31], s[2:3], s9, v11, v[30:31]
	v_mov_b32_e32 v29, v30
	v_add_u32_e32 v5, 0x88, v10
	v_lshl_add_u64 v[42:43], v[28:29], 2, v[8:9]
	v_mad_u64_u32 v[28:29], s[2:3], s8, v5, 0
	v_mov_b32_e32 v30, v29
	v_mad_u64_u32 v[30:31], s[2:3], s9, v5, v[30:31]
	v_mov_b32_e32 v29, v30
	v_add_u32_e32 v5, 0xdd, v10
	v_lshl_add_u64 v[44:45], v[28:29], 2, v[8:9]
	v_mad_u64_u32 v[28:29], s[2:3], s8, v5, 0
	v_mov_b32_e32 v30, v29
	v_mad_u64_u32 v[30:31], s[2:3], s9, v5, v[30:31]
	v_lshl_add_u64 v[14:15], v[14:15], 2, v[8:9]
	v_mov_b32_e32 v29, v30
	v_lshl_add_u64 v[16:17], v[16:17], 2, v[8:9]
	v_lshl_add_u64 v[20:21], v[20:21], 2, v[8:9]
	;; [unrolled: 1-line block ×3, first 2 shown]
	global_load_dword v33, v[14:15], off
	global_load_dword v61, v[16:17], off
	;; [unrolled: 1-line block ×8, first 2 shown]
	v_add_u32_e32 v17, 0x132, v10
	v_mad_u64_u32 v[14:15], s[2:3], s8, v17, 0
	v_mov_b32_e32 v16, v15
	v_mad_u64_u32 v[16:17], s[2:3], s9, v17, v[16:17]
	v_add_u32_e32 v19, 0x187, v10
	v_mov_b32_e32 v15, v16
	v_mad_u64_u32 v[16:17], s[2:3], s8, v19, 0
	v_mov_b32_e32 v20, v17
	v_mad_u64_u32 v[20:21], s[2:3], s9, v19, v[20:21]
	v_mov_b32_e32 v17, v20
	v_add_u32_e32 v19, 0x1dc, v10
	v_lshl_add_u64 v[20:21], v[16:17], 2, v[8:9]
	v_mad_u64_u32 v[16:17], s[2:3], s8, v19, 0
	v_mov_b32_e32 v32, v17
	v_lshl_add_u64 v[14:15], v[14:15], 2, v[8:9]
	s_waitcnt vmcnt(18)
	v_lshrrev_b32_e32 v71, 16, v57
	s_waitcnt vmcnt(11)
	v_lshrrev_b32_e32 v77, 16, v59
	s_waitcnt vmcnt(7)
	v_mad_u64_u32 v[38:39], s[2:3], s9, v19, v[32:33]
	v_mov_b32_e32 v17, v38
	v_add_u32_e32 v19, 0x231, v10
	v_lshl_add_u64 v[40:41], v[16:17], 2, v[8:9]
	v_mad_u64_u32 v[16:17], s[2:3], s8, v19, 0
	v_mov_b32_e32 v32, v17
	v_mad_u64_u32 v[38:39], s[2:3], s9, v19, v[32:33]
	v_mov_b32_e32 v17, v38
	v_lshl_add_u64 v[42:43], v[16:17], 2, v[8:9]
	v_add_u32_e32 v16, 0x44, v10
	v_mad_u64_u32 v[38:39], s[2:3], s8, v16, 0
	v_mov_b32_e32 v32, v39
	v_mad_u64_u32 v[44:45], s[2:3], s9, v16, v[32:33]
	v_mov_b32_e32 v39, v44
	v_add_u32_e32 v17, 0x99, v10
	v_lshl_add_u64 v[44:45], v[38:39], 2, v[8:9]
	v_mad_u64_u32 v[38:39], s[2:3], s8, v17, 0
	v_mov_b32_e32 v32, v39
	v_mad_u64_u32 v[46:47], s[2:3], s9, v17, v[32:33]
	v_mov_b32_e32 v39, v46
	v_add_u32_e32 v17, 0xee, v10
	v_lshl_add_u64 v[46:47], v[38:39], 2, v[8:9]
	;; [unrolled: 6-line block ×6, first 2 shown]
	global_load_dword v29, v[14:15], off
	global_load_dword v38, v[20:21], off
	;; [unrolled: 1-line block ×3, first 2 shown]
	v_mad_u64_u32 v[14:15], s[2:3], s8, v17, 0
	v_mov_b32_e32 v20, v15
	v_mad_u64_u32 v[20:21], s[2:3], s9, v17, v[20:21]
	v_mov_b32_e32 v15, v20
	global_load_dword v60, v[42:43], off
	v_lshl_add_u64 v[14:15], v[14:15], 2, v[8:9]
	global_load_dword v62, v[44:45], off
	global_load_dword v31, v[46:47], off
	;; [unrolled: 1-line block ×7, first 2 shown]
	s_mov_b32 s2, 0x5040100
	s_mov_b32 s3, 0x7060302
	s_waitcnt vmcnt(15)
	v_lshrrev_b32_e32 v72, 16, v63
	v_perm_b32 v39, v63, v61, s2
	s_waitcnt vmcnt(14)
	v_perm_b32 v40, v28, v61, s3
	v_perm_b32 v52, v59, v58, s2
	;; [unrolled: 1-line block ×5, first 2 shown]
	v_mov_b32_e32 v17, v11
	v_mov_b32_e32 v15, v12
	;; [unrolled: 1-line block ×3, first 2 shown]
	s_waitcnt vmcnt(8)
	v_lshrrev_b32_e32 v76, 16, v27
	v_perm_b32 v27, v27, v29, s2
	s_waitcnt vmcnt(7)
	v_perm_b32 v29, v60, v29, s3
.LBB0_12:
	s_or_b64 exec, exec, s[0:1]
	s_mov_b32 s2, 0x5040100
	s_mov_b32 s1, 0x7060302
	v_perm_b32 v96, v7, v18, s2
	s_mov_b32 s0, 0xaaaaaaab
	v_add_f16_e32 v41, v4, v6
	v_perm_b32 v95, v6, v18, s1
	v_pk_add_f16 v18, v70, v96
	v_mul_hi_u32 v21, v2, s0
	v_sub_f16_sdwa v42, v7, v71 dst_sel:DWORD dst_unused:UNUSED_PAD src0_sel:WORD_1 src1_sel:DWORD
	v_pk_add_f16 v43, v95, v75 neg_lo:[0,1] neg_hi:[0,1]
	v_add_f16_sdwa v44, v41, v18 dst_sel:DWORD dst_unused:UNUSED_PAD src0_sel:DWORD src1_sel:WORD_1
	v_sub_f16_e32 v49, v41, v18
	v_alignbit_b32 v41, v41, v18, 16
	v_lshrrev_b32_e32 v21, 1, v21
	v_pk_add_f16 v41, v18, v41 neg_lo:[0,1] neg_hi:[0,1]
	v_add_f16_e32 v50, v42, v43
	v_pack_b32_f16 v51, v42, v43
	v_sub_f16_sdwa v42, v42, v43 dst_sel:DWORD dst_unused:UNUSED_PAD src0_sel:DWORD src1_sel:WORD_1
	s_mov_b32 s3, 0x39e02b26
	v_lshl_add_u32 v21, v21, 1, v21
	v_pk_add_f16 v51, v43, v51 neg_lo:[0,1] neg_hi:[0,1]
	v_add_f16_e32 v18, v44, v18
	v_add_f16_sdwa v43, v43, v50 dst_sel:DWORD dst_unused:UNUSED_PAD src0_sel:WORD_1 src1_sel:DWORD
	v_mul_f16_e32 v44, 0xba52, v49
	v_pk_mul_f16 v50, v41, s3
	s_movk_i32 s10, 0x3a52
	s_mov_b32 s11, 0xb5743846
	v_mul_f16_e32 v42, 0xbb00, v42
	v_sub_u32_e32 v2, v2, v21
	s_mov_b32 s7, 0xbcab
	v_fma_f16 v49, v49, s10, v50
	v_alignbit_b32 v44, v44, v50, 16
	v_add_f16_e32 v50, v18, v1
	v_pk_fma_f16 v42, v51, s11, v42 op_sel_hi:[1,1,0] neg_lo:[1,0,0] neg_hi:[1,0,1]
	v_pk_mul_f16 v51, v51, s11
	v_mul_u32_u24_e32 v2, 0x253, v2
	s_mov_b32 s6, 0xb70e
	v_pk_fma_f16 v41, v41, s3, v44 neg_lo:[1,0,0] neg_hi:[1,0,0]
	v_mul_f16_e32 v44, 0xb70e, v43
	v_fma_f16 v18, v18, s7, v50
	v_add_f16_sdwa v51, v51, v51 dst_sel:DWORD dst_unused:UNUSED_PAD src0_sel:WORD_1 src1_sel:DWORD
	v_lshlrev_b32_e32 v21, 1, v2
	v_add_f16_e32 v49, v49, v18
	v_pk_add_f16 v18, v41, v18 op_sel_hi:[1,0]
	v_fma_f16 v41, v43, s6, v51
	v_pk_add_f16 v42, v42, v44 op_sel_hi:[1,0]
	s_mov_b32 s0, 0xffff
	v_add_u32_e32 v2, 0, v21
	v_add_f16_e32 v51, v49, v41
	v_pk_add_f16 v43, v18, v42
	v_pk_add_f16 v18, v18, v42 neg_lo:[0,1] neg_hi:[0,1]
	v_perm_b32 v101, v26, v24, s2
	v_add_f16_e32 v45, v23, v22
	v_mad_u32_u24 v78, v10, 14, v2
	v_bfi_b32 v44, s0, v43, v18
	v_alignbit_b32 v43, v18, v43, 16
	v_pack_b32_f16 v42, v50, v51
	v_perm_b32 v99, v22, v24, s1
	v_pk_add_f16 v18, v52, v101
	v_sub_f16_sdwa v46, v26, v77 dst_sel:DWORD dst_unused:UNUSED_PAD src0_sel:WORD_1 src1_sel:DWORD
	v_sub_f16_e32 v41, v49, v41
	ds_write_b96 v78, v[42:44]
	ds_write_b16 v78, v41 offset:12
	v_pk_add_f16 v24, v99, v53 neg_lo:[0,1] neg_hi:[0,1]
	v_alignbit_b32 v43, v45, v18, 16
	v_add_f16_sdwa v41, v45, v18 dst_sel:DWORD dst_unused:UNUSED_PAD src0_sel:DWORD src1_sel:WORD_1
	v_sub_f16_e32 v42, v45, v18
	v_pk_add_f16 v43, v18, v43 neg_lo:[0,1] neg_hi:[0,1]
	v_add_f16_e32 v44, v46, v24
	v_pack_b32_f16 v45, v46, v24
	v_pk_add_f16 v45, v24, v45 neg_lo:[0,1] neg_hi:[0,1]
	v_sub_f16_sdwa v46, v46, v24 dst_sel:DWORD dst_unused:UNUSED_PAD src0_sel:DWORD src1_sel:WORD_1
	v_add_f16_e32 v18, v41, v18
	v_add_f16_sdwa v24, v24, v44 dst_sel:DWORD dst_unused:UNUSED_PAD src0_sel:WORD_1 src1_sel:DWORD
	v_mul_f16_e32 v41, 0xba52, v42
	v_pk_mul_f16 v44, v43, s3
	v_add_f16_e32 v49, v18, v0
	v_fma_f16 v42, v42, s10, v44
	v_alignbit_b32 v41, v41, v44, 16
	v_mul_f16_e32 v44, 0xbb00, v46
	v_pk_fma_f16 v41, v43, s3, v41 neg_lo:[1,0,0] neg_hi:[1,0,0]
	v_mul_f16_e32 v43, 0xb70e, v24
	v_pk_fma_f16 v44, v45, s11, v44 op_sel_hi:[1,1,0] neg_lo:[1,0,0] neg_hi:[1,0,1]
	v_pk_mul_f16 v45, v45, s11
	v_fma_f16 v18, v18, s7, v49
	v_add_f16_sdwa v45, v45, v45 dst_sel:DWORD dst_unused:UNUSED_PAD src0_sel:WORD_1 src1_sel:DWORD
	v_add_f16_e32 v46, v42, v18
	v_pk_add_f16 v18, v41, v18 op_sel_hi:[1,0]
	v_pk_add_f16 v41, v44, v43 op_sel_hi:[1,0]
	v_fma_f16 v24, v24, s6, v45
	v_pk_add_f16 v42, v18, v41
	v_pk_add_f16 v18, v18, v41 neg_lo:[0,1] neg_hi:[0,1]
	v_perm_b32 v103, v33, v37, s2
	v_bfi_b32 v44, s0, v42, v18
	v_alignbit_b32 v43, v18, v42, 16
	v_add_f16_e32 v18, v46, v24
	v_add_f16_e32 v47, v28, v25
	v_mad_i32_i24 v80, v14, 14, v2
	v_pack_b32_f16 v42, v49, v18
	v_perm_b32 v102, v25, v37, s1
	v_pk_add_f16 v18, v39, v103
	v_sub_f16_sdwa v48, v33, v72 dst_sel:DWORD dst_unused:UNUSED_PAD src0_sel:WORD_1 src1_sel:DWORD
	ds_write_b96 v80, v[42:44]
	v_pk_add_f16 v37, v102, v40 neg_lo:[0,1] neg_hi:[0,1]
	v_add_f16_sdwa v41, v47, v18 dst_sel:DWORD dst_unused:UNUSED_PAD src0_sel:DWORD src1_sel:WORD_1
	v_alignbit_b32 v43, v47, v18, 16
	v_sub_f16_e32 v42, v47, v18
	v_pk_add_f16 v43, v18, v43 neg_lo:[0,1] neg_hi:[0,1]
	v_add_f16_e32 v44, v48, v37
	v_add_f16_e32 v18, v41, v18
	v_pack_b32_f16 v41, v48, v37
	v_pk_add_f16 v41, v37, v41 neg_lo:[0,1] neg_hi:[0,1]
	v_sub_f16_sdwa v45, v48, v37 dst_sel:DWORD dst_unused:UNUSED_PAD src0_sel:DWORD src1_sel:WORD_1
	v_add_f16_sdwa v37, v37, v44 dst_sel:DWORD dst_unused:UNUSED_PAD src0_sel:WORD_1 src1_sel:DWORD
	v_mul_f16_e32 v44, 0xba52, v42
	v_pk_mul_f16 v47, v43, s3
	v_sub_f16_e32 v24, v46, v24
	v_alignbit_b32 v44, v44, v47, 16
	v_pk_fma_f16 v43, v43, s3, v44 neg_lo:[1,0,0] neg_hi:[1,0,0]
	v_mul_f16_e32 v44, 0xbb00, v45
	v_pk_fma_f16 v44, v41, s11, v44 op_sel_hi:[1,1,0] neg_lo:[1,0,0] neg_hi:[1,0,1]
	v_mul_f16_e32 v45, 0xb70e, v37
	v_pk_add_f16 v44, v44, v45 op_sel_hi:[1,0]
	v_add_f16_e32 v45, v18, v3
	v_pk_mul_f16 v41, v41, s11
	v_fma_f16 v18, v18, s7, v45
	ds_write_b16 v80, v24 offset:12
	v_fma_f16 v24, v42, s10, v47
	v_add_f16_sdwa v41, v41, v41 dst_sel:DWORD dst_unused:UNUSED_PAD src0_sel:WORD_1 src1_sel:DWORD
	v_pk_add_f16 v43, v43, v18 op_sel_hi:[1,0]
	v_add_f16_e32 v18, v24, v18
	v_fma_f16 v37, v37, s6, v41
	v_pk_add_f16 v48, v43, v44
	v_pk_add_f16 v43, v43, v44 neg_lo:[0,1] neg_hi:[0,1]
	v_add_f16_e32 v41, v18, v37
	v_perm_b32 v106, v34, v38, s2
	v_bfi_b32 v44, s0, v48, v43
	v_alignbit_b32 v43, v43, v48, 16
	v_add_f16_e32 v46, v60, v30
	v_pack_b32_f16 v42, v45, v41
	v_mad_i32_i24 v92, v15, 14, v2
	v_perm_b32 v105, v30, v38, s1
	v_pk_add_f16 v38, v27, v106
	ds_write_b96 v92, v[42:44]
	v_add_f16_sdwa v41, v46, v38 dst_sel:DWORD dst_unused:UNUSED_PAD src0_sel:DWORD src1_sel:WORD_1
	v_alignbit_b32 v43, v46, v38, 16
	v_sub_f16_sdwa v24, v34, v76 dst_sel:DWORD dst_unused:UNUSED_PAD src0_sel:WORD_1 src1_sel:DWORD
	v_sub_f16_e32 v42, v46, v38
	v_pk_add_f16 v43, v38, v43 neg_lo:[0,1] neg_hi:[0,1]
	v_add_f16_e32 v38, v41, v38
	v_pk_add_f16 v41, v105, v29 neg_lo:[0,1] neg_hi:[0,1]
	v_pk_mul_f16 v46, v43, s3
	v_pack_b32_f16 v44, v24, v41
	v_pk_add_f16 v45, v41, v44 neg_lo:[0,1] neg_hi:[0,1]
	v_add_f16_e32 v44, v24, v41
	v_sub_f16_sdwa v24, v24, v41 dst_sel:DWORD dst_unused:UNUSED_PAD src0_sel:DWORD src1_sel:WORD_1
	v_add_f16_sdwa v41, v41, v44 dst_sel:DWORD dst_unused:UNUSED_PAD src0_sel:WORD_1 src1_sel:DWORD
	v_mul_f16_e32 v44, 0xba52, v42
	v_alignbit_b32 v44, v44, v46, 16
	v_mul_f16_e32 v24, 0xbb00, v24
	v_add_f16_e32 v47, v38, v5
	v_pk_fma_f16 v43, v43, s3, v44 neg_lo:[1,0,0] neg_hi:[1,0,0]
	v_pk_fma_f16 v24, v45, s11, v24 op_sel_hi:[1,1,0] neg_lo:[1,0,0] neg_hi:[1,0,1]
	v_mul_f16_e32 v44, 0xb70e, v41
	v_fma_f16 v38, v38, s7, v47
	v_pk_add_f16 v24, v24, v44 op_sel_hi:[1,0]
	v_pk_add_f16 v43, v43, v38 op_sel_hi:[1,0]
	s_waitcnt vmcnt(0)
	v_pk_add_f16 v110, v36, v31
	v_pk_add_f16 v108, v31, v36 neg_lo:[0,1] neg_hi:[0,1]
	v_pk_add_f16 v111, v35, v32
	v_pk_add_f16 v109, v32, v35 neg_lo:[0,1] neg_hi:[0,1]
	v_sub_f16_e32 v18, v18, v37
	v_pk_add_f16 v112, v20, v19
	v_pk_add_f16 v113, v19, v20 neg_lo:[0,1] neg_hi:[0,1]
	v_pk_add_f16 v48, v43, v24
	v_pk_add_f16 v24, v43, v24 neg_lo:[0,1] neg_hi:[0,1]
	v_bfi_b32 v31, s0, v110, v108
	ds_write_b16 v92, v18 offset:12
	v_bfi_b32 v18, s0, v111, v109
	v_bfi_b32 v19, s0, v112, v113
	;; [unrolled: 1-line block ×3, first 2 shown]
	v_alignbit_b32 v43, v24, v48, 16
	v_fma_f16 v24, v42, s10, v46
	v_pk_add_f16 v18, v19, v18 neg_lo:[0,1] neg_hi:[0,1]
	v_pk_add_f16 v31, v31, v19 neg_lo:[0,1] neg_hi:[0,1]
	s_mov_b32 s0, 0xb5743a52
	s_mov_b32 s1, 0x38462b26
	v_add_f16_e32 v24, v24, v38
	v_pk_mul_f16 v38, v45, s11
	v_pk_mul_f16 v18, v18, s1
	;; [unrolled: 1-line block ×3, first 2 shown]
	v_add_f16_sdwa v38, v38, v38 dst_sel:DWORD dst_unused:UNUSED_PAD src0_sel:WORD_1 src1_sel:DWORD
	v_sub_f16_sdwa v19, v109, v108 dst_sel:DWORD dst_unused:UNUSED_PAD src0_sel:WORD_1 src1_sel:WORD_1
	v_lshrrev_b32_e32 v20, 16, v18
	s_mov_b32 s11, 0xbb00
	s_movk_i32 s1, 0x3b00
	v_lshrrev_b32_e32 v35, 16, v32
	v_fma_f16 v38, v41, s6, v38
	v_fma_f16 v20, v19, s11, -v20
	v_fma_f16 v19, v19, s1, -v35
	v_add_f16_e32 v35, v110, v111
	v_add_f16_e32 v41, v24, v38
	;; [unrolled: 1-line block ×3, first 2 shown]
	v_add_f16_sdwa v36, v109, v113 dst_sel:DWORD dst_unused:UNUSED_PAD src0_sel:WORD_1 src1_sel:WORD_1
	v_pack_b32_f16 v42, v47, v41
	v_add_f16_sdwa v36, v108, v36 dst_sel:DWORD dst_unused:UNUSED_PAD src0_sel:WORD_1 src1_sel:DWORD
	v_add_f16_e32 v37, v35, v62
	s_movk_i32 s12, 0x39e0
	s_mov_b32 s13, 0xb9e0
	v_sub_f16_e32 v41, v111, v110
	v_fma_f16 v35, v35, s7, v37
	v_fma_f16 v32, v41, s13, -v32
	v_fma_f16 v41, v41, s12, -v18
	v_pk_fma_f16 v18, v31, s0, v18
	v_mul_f16_e32 v31, 0xb70e, v36
	v_pack_b32_f16 v31, v35, v31
	v_mad_i32_i24 v104, v17, 14, v2
	v_add_f16_e32 v41, v41, v35
	v_fma_f16 v20, v36, s6, v20
	v_add_f16_e32 v32, v32, v35
	v_fma_f16 v19, v36, s6, v19
	v_pk_add_f16 v18, v18, v31
	ds_write_b96 v104, v[42:44]
	v_sub_f16_e32 v42, v41, v20
	v_add_f16_e32 v20, v41, v20
	v_add_f16_e32 v41, v32, v19
	v_sub_f16_e32 v19, v32, v19
	v_sub_f16_e32 v24, v24, v38
	v_add_f16_sdwa v31, v18, v18 dst_sel:DWORD dst_unused:UNUSED_PAD src0_sel:DWORD src1_sel:WORD_1
	v_pack_b32_f16 v20, v20, v19
	v_pack_b32_f16 v19, v41, v42
	ds_write_b16 v104, v24 offset:12
	v_sub_f16_sdwa v24, v18, v18 dst_sel:DWORD dst_unused:UNUSED_PAD src0_sel:DWORD src1_sel:WORD_1
	v_pack_b32_f16 v18, v37, v31
	v_mad_i32_i24 v107, v16, 14, v2
	ds_write_b96 v107, v[18:20]
	ds_write_b16 v107, v24 offset:12
	v_lshlrev_b32_e32 v18, 1, v10
	v_add_u32_e32 v19, v2, v18
	v_add3_u32 v18, 0, v18, v21
	s_waitcnt lgkmcnt(0)
	; wave barrier
	s_waitcnt lgkmcnt(0)
	ds_read_u16 v100, v19
	ds_read_u16 v90, v18 offset:70
	ds_read_u16 v46, v18 offset:104
	;; [unrolled: 1-line block ×3, first 2 shown]
	v_lshl_add_u32 v20, v14, 1, v2
	ds_read_u16 v88, v18 offset:280
	ds_read_u16 v45, v18 offset:244
	;; [unrolled: 1-line block ×28, first 2 shown]
	ds_read_u16 v98, v20
	ds_read_u16 v49, v18 offset:1154
	v_cmp_eq_u32_e64 s[0:1], 0, v10
                                        ; implicit-def: $vgpr44
                                        ; implicit-def: $vgpr43
                                        ; implicit-def: $vgpr38
                                        ; implicit-def: $vgpr37
                                        ; implicit-def: $vgpr31
                                        ; implicit-def: $vgpr32
                                        ; implicit-def: $vgpr48
                                        ; implicit-def: $vgpr35
                                        ; implicit-def: $vgpr82
                                        ; implicit-def: $vgpr68
                                        ; implicit-def: $vgpr59
                                        ; implicit-def: $vgpr50
                                        ; implicit-def: $vgpr42
                                        ; implicit-def: $vgpr36
                                        ; implicit-def: $vgpr41
                                        ; implicit-def: $vgpr57
	s_and_saveexec_b64 s[2:3], s[0:1]
	s_cbranch_execz .LBB0_14
; %bb.13:
	ds_read_u16 v24, v2 offset:68
	ds_read_u16 v44, v2 offset:138
	;; [unrolled: 1-line block ×17, first 2 shown]
.LBB0_14:
	s_or_b64 exec, exec, s[2:3]
	v_sub_f16_e32 v4, v6, v4
	v_add_f16_sdwa v6, v71, v7 dst_sel:DWORD dst_unused:UNUSED_PAD src0_sel:DWORD src1_sel:WORD_1
	v_sub_f16_e32 v7, v22, v23
	v_add_f16_sdwa v22, v110, v111 dst_sel:DWORD dst_unused:UNUSED_PAD src0_sel:WORD_1 src1_sel:WORD_1
	v_add_f16_sdwa v23, v77, v26 dst_sel:DWORD dst_unused:UNUSED_PAD src0_sel:DWORD src1_sel:WORD_1
	v_sub_f16_e32 v25, v25, v28
	v_sub_f16_e32 v28, v30, v60
	v_add_f16_sdwa v30, v76, v34 dst_sel:DWORD dst_unused:UNUSED_PAD src0_sel:DWORD src1_sel:WORD_1
	v_sub_f16_sdwa v34, v110, v112 dst_sel:DWORD dst_unused:UNUSED_PAD src0_sel:WORD_1 src1_sel:WORD_1
	v_sub_f16_sdwa v60, v112, v111 dst_sel:DWORD dst_unused:UNUSED_PAD src0_sel:WORD_1 src1_sel:WORD_1
	v_sub_f16_e32 v71, v113, v109
	v_sub_f16_e32 v76, v109, v108
	v_add_f16_sdwa v22, v22, v112 dst_sel:DWORD dst_unused:UNUSED_PAD src0_sel:DWORD src1_sel:WORD_1
	v_add_f16_e32 v77, v109, v113
	v_add_f16_sdwa v26, v72, v33 dst_sel:DWORD dst_unused:UNUSED_PAD src0_sel:DWORD src1_sel:WORD_1
	v_sub_f16_sdwa v33, v111, v110 dst_sel:DWORD dst_unused:UNUSED_PAD src0_sel:WORD_1 src1_sel:WORD_1
	v_sub_f16_e32 v72, v108, v113
	v_add_f16_e32 v77, v108, v77
	v_add_f16_sdwa v62, v22, v62 dst_sel:DWORD dst_unused:UNUSED_PAD src0_sel:DWORD src1_sel:WORD_1
	v_mul_f16_e32 v108, 0x3a52, v34
	v_mul_f16_e32 v60, 0x2b26, v60
	;; [unrolled: 1-line block ×4, first 2 shown]
	s_mov_b32 s2, 0xb574
	s_movk_i32 s3, 0x3574
	v_fma_f16 v22, v22, s7, v62
	v_fma_f16 v34, v34, s10, v60
	v_fma_f16 v60, v33, s12, -v60
	v_fma_f16 v33, v33, s13, -v108
	v_fma_f16 v108, v72, s2, v71
	v_fma_f16 v71, v76, s11, -v71
	v_fma_f16 v72, v72, s3, -v109
	v_add_f16_e32 v34, v34, v22
	v_add_f16_e32 v60, v60, v22
	;; [unrolled: 1-line block ×3, first 2 shown]
	v_fma_f16 v33, v77, s6, v108
	v_fma_f16 v71, v77, s6, v71
	;; [unrolled: 1-line block ×3, first 2 shown]
	v_sub_f16_e32 v76, v34, v33
	v_sub_f16_e32 v77, v22, v72
	v_add_f16_e32 v108, v71, v60
	v_sub_f16_e32 v60, v60, v71
	v_add_f16_e32 v71, v72, v22
	v_add_f16_e32 v22, v33, v34
	v_pk_add_f16 v33, v75, v95
	v_pk_add_f16 v34, v96, v70 neg_lo:[0,1] neg_hi:[0,1]
	v_add_f16_sdwa v70, v33, v6 dst_sel:DWORD dst_unused:UNUSED_PAD src0_sel:WORD_1 src1_sel:DWORD
	v_sub_f16_sdwa v72, v6, v33 dst_sel:DWORD dst_unused:UNUSED_PAD src0_sel:DWORD src1_sel:WORD_1
	v_sub_f16_sdwa v75, v33, v33 dst_sel:DWORD dst_unused:UNUSED_PAD src0_sel:WORD_1 src1_sel:DWORD
	v_sub_f16_e32 v6, v33, v6
	v_add_f16_sdwa v95, v34, v34 dst_sel:DWORD dst_unused:UNUSED_PAD src0_sel:WORD_1 src1_sel:DWORD
	v_sub_f16_sdwa v96, v34, v34 dst_sel:DWORD dst_unused:UNUSED_PAD src0_sel:DWORD src1_sel:WORD_1
	v_add_f16_e32 v33, v70, v33
	v_sub_f16_e32 v109, v4, v34
	v_sub_f16_sdwa v34, v34, v4 dst_sel:DWORD dst_unused:UNUSED_PAD src0_sel:WORD_1 src1_sel:DWORD
	v_add_f16_e32 v4, v4, v95
	v_add_f16_sdwa v1, v33, v1 dst_sel:DWORD dst_unused:UNUSED_PAD src0_sel:DWORD src1_sel:WORD_1
	v_mul_f16_e32 v6, 0x2b26, v6
	v_mul_f16_e32 v95, 0x3846, v96
	v_mul_f16_e32 v70, 0x3a52, v75
	v_mul_f16_e32 v96, 0xbb00, v34
	v_fma_f16 v33, v33, s7, v1
	v_fma_f16 v75, v75, s10, v6
	v_fma_f16 v6, v72, s12, -v6
	v_fma_f16 v34, v34, s11, -v95
	v_add_f16_e32 v6, v6, v33
	v_fma_f16 v34, v4, s6, v34
	v_fma_f16 v70, v72, s13, -v70
	v_fma_f16 v72, v109, s2, v95
	v_fma_f16 v95, v109, s3, -v96
	v_add_f16_e32 v96, v34, v6
	v_sub_f16_e32 v6, v6, v34
	v_pk_add_f16 v34, v53, v99
	v_add_f16_e32 v75, v75, v33
	v_add_f16_e32 v33, v70, v33
	v_fma_f16 v70, v4, s6, v72
	v_fma_f16 v4, v4, s6, v95
	v_pk_add_f16 v52, v101, v52 neg_lo:[0,1] neg_hi:[0,1]
	v_add_f16_sdwa v53, v34, v23 dst_sel:DWORD dst_unused:UNUSED_PAD src0_sel:WORD_1 src1_sel:DWORD
	v_sub_f16_e32 v72, v75, v70
	v_sub_f16_e32 v95, v33, v4
	v_add_f16_e32 v4, v4, v33
	v_add_f16_e32 v33, v70, v75
	v_sub_f16_sdwa v70, v23, v34 dst_sel:DWORD dst_unused:UNUSED_PAD src0_sel:DWORD src1_sel:WORD_1
	v_sub_f16_sdwa v75, v34, v34 dst_sel:DWORD dst_unused:UNUSED_PAD src0_sel:WORD_1 src1_sel:DWORD
	v_sub_f16_e32 v23, v34, v23
	v_add_f16_sdwa v99, v52, v52 dst_sel:DWORD dst_unused:UNUSED_PAD src0_sel:WORD_1 src1_sel:DWORD
	v_sub_f16_sdwa v101, v52, v52 dst_sel:DWORD dst_unused:UNUSED_PAD src0_sel:DWORD src1_sel:WORD_1
	v_add_f16_e32 v34, v53, v34
	v_sub_f16_e32 v109, v7, v52
	v_sub_f16_sdwa v52, v52, v7 dst_sel:DWORD dst_unused:UNUSED_PAD src0_sel:WORD_1 src1_sel:DWORD
	v_add_f16_e32 v7, v7, v99
	v_add_f16_sdwa v0, v34, v0 dst_sel:DWORD dst_unused:UNUSED_PAD src0_sel:DWORD src1_sel:WORD_1
	v_mul_f16_e32 v23, 0x2b26, v23
	v_mul_f16_e32 v99, 0x3846, v101
	;; [unrolled: 1-line block ×4, first 2 shown]
	v_fma_f16 v34, v34, s7, v0
	v_fma_f16 v75, v75, s10, v23
	v_fma_f16 v23, v70, s12, -v23
	v_fma_f16 v52, v52, s11, -v99
	;; [unrolled: 1-line block ×3, first 2 shown]
	v_fma_f16 v70, v109, s2, v99
	v_fma_f16 v99, v109, s3, -v101
	v_add_f16_e32 v23, v23, v34
	v_fma_f16 v52, v7, s6, v52
	v_pk_add_f16 v40, v40, v102
	v_add_f16_e32 v75, v75, v34
	v_add_f16_e32 v34, v53, v34
	v_fma_f16 v53, v7, s6, v70
	v_fma_f16 v7, v7, s6, v99
	v_add_f16_e32 v101, v52, v23
	v_sub_f16_e32 v23, v23, v52
	v_pk_add_f16 v39, v103, v39 neg_lo:[0,1] neg_hi:[0,1]
	v_add_f16_sdwa v52, v40, v26 dst_sel:DWORD dst_unused:UNUSED_PAD src0_sel:WORD_1 src1_sel:DWORD
	v_sub_f16_e32 v70, v75, v53
	v_sub_f16_e32 v99, v34, v7
	v_add_f16_e32 v7, v7, v34
	v_add_f16_e32 v34, v53, v75
	v_sub_f16_sdwa v53, v26, v40 dst_sel:DWORD dst_unused:UNUSED_PAD src0_sel:DWORD src1_sel:WORD_1
	v_sub_f16_sdwa v75, v40, v40 dst_sel:DWORD dst_unused:UNUSED_PAD src0_sel:WORD_1 src1_sel:DWORD
	v_sub_f16_e32 v26, v40, v26
	v_add_f16_sdwa v102, v39, v39 dst_sel:DWORD dst_unused:UNUSED_PAD src0_sel:WORD_1 src1_sel:DWORD
	v_sub_f16_sdwa v103, v39, v39 dst_sel:DWORD dst_unused:UNUSED_PAD src0_sel:DWORD src1_sel:WORD_1
	v_sub_f16_e32 v109, v25, v39
	v_sub_f16_sdwa v39, v39, v25 dst_sel:DWORD dst_unused:UNUSED_PAD src0_sel:WORD_1 src1_sel:DWORD
	v_add_f16_e32 v40, v52, v40
	v_add_f16_e32 v25, v25, v102
	v_add_f16_sdwa v3, v40, v3 dst_sel:DWORD dst_unused:UNUSED_PAD src0_sel:DWORD src1_sel:WORD_1
	v_mul_f16_e32 v52, 0x3a52, v75
	v_mul_f16_e32 v26, 0x2b26, v26
	;; [unrolled: 1-line block ×4, first 2 shown]
	v_fma_f16 v40, v40, s7, v3
	v_fma_f16 v75, v75, s10, v26
	v_fma_f16 v26, v53, s12, -v26
	v_fma_f16 v52, v53, s13, -v52
	v_fma_f16 v53, v109, s2, v102
	v_fma_f16 v39, v39, s11, -v102
	v_fma_f16 v102, v109, s3, -v103
	v_add_f16_e32 v75, v75, v40
	v_add_f16_e32 v26, v26, v40
	v_add_f16_e32 v40, v52, v40
	v_fma_f16 v52, v25, s6, v53
	v_fma_f16 v39, v25, s6, v39
	;; [unrolled: 1-line block ×3, first 2 shown]
	v_pk_add_f16 v29, v29, v105
	v_sub_f16_e32 v102, v40, v25
	v_add_f16_e32 v25, v25, v40
	v_pk_add_f16 v27, v106, v27 neg_lo:[0,1] neg_hi:[0,1]
	v_add_f16_sdwa v40, v29, v30 dst_sel:DWORD dst_unused:UNUSED_PAD src0_sel:WORD_1 src1_sel:DWORD
	v_sub_f16_e32 v53, v75, v52
	v_add_f16_e32 v103, v39, v26
	v_sub_f16_e32 v26, v26, v39
	v_add_f16_e32 v39, v52, v75
	v_sub_f16_sdwa v52, v30, v29 dst_sel:DWORD dst_unused:UNUSED_PAD src0_sel:DWORD src1_sel:WORD_1
	v_sub_f16_sdwa v75, v29, v29 dst_sel:DWORD dst_unused:UNUSED_PAD src0_sel:WORD_1 src1_sel:DWORD
	v_sub_f16_e32 v30, v29, v30
	v_add_f16_sdwa v105, v27, v27 dst_sel:DWORD dst_unused:UNUSED_PAD src0_sel:WORD_1 src1_sel:DWORD
	v_sub_f16_sdwa v106, v27, v27 dst_sel:DWORD dst_unused:UNUSED_PAD src0_sel:DWORD src1_sel:WORD_1
	v_sub_f16_e32 v109, v28, v27
	v_sub_f16_sdwa v27, v27, v28 dst_sel:DWORD dst_unused:UNUSED_PAD src0_sel:WORD_1 src1_sel:DWORD
	v_add_f16_e32 v29, v40, v29
	v_add_f16_e32 v28, v28, v105
	v_add_f16_sdwa v40, v29, v5 dst_sel:DWORD dst_unused:UNUSED_PAD src0_sel:DWORD src1_sel:WORD_1
	v_mul_f16_e32 v5, 0x3a52, v75
	v_mul_f16_e32 v30, 0x2b26, v30
	;; [unrolled: 1-line block ×4, first 2 shown]
	v_fma_f16 v29, v29, s7, v40
	v_fma_f16 v75, v75, s10, v30
	v_fma_f16 v30, v52, s12, -v30
	v_fma_f16 v5, v52, s13, -v5
	v_fma_f16 v52, v109, s2, v105
	v_fma_f16 v27, v27, s11, -v105
	v_fma_f16 v105, v109, s3, -v106
	v_add_f16_e32 v75, v75, v29
	v_add_f16_e32 v30, v30, v29
	;; [unrolled: 1-line block ×3, first 2 shown]
	v_fma_f16 v29, v28, s6, v52
	v_fma_f16 v27, v28, s6, v27
	;; [unrolled: 1-line block ×3, first 2 shown]
	v_sub_f16_e32 v105, v5, v28
	v_add_f16_e32 v28, v28, v5
	v_pack_b32_f16 v6, v6, v4
	v_pack_b32_f16 v5, v95, v96
	;; [unrolled: 1-line block ×3, first 2 shown]
	s_waitcnt lgkmcnt(0)
	; wave barrier
	s_waitcnt lgkmcnt(0)
	ds_write_b96 v78, v[4:6]
	ds_write_b16 v78, v33 offset:12
	v_pack_b32_f16 v6, v23, v7
	v_pack_b32_f16 v5, v99, v101
	;; [unrolled: 1-line block ×3, first 2 shown]
	v_sub_f16_e32 v52, v75, v29
	v_add_f16_e32 v106, v27, v30
	v_sub_f16_e32 v27, v30, v27
	ds_write_b96 v80, v[4:6]
	ds_write_b16 v80, v34 offset:12
	v_pack_b32_f16 v6, v26, v25
	v_pack_b32_f16 v5, v102, v103
	;; [unrolled: 1-line block ×3, first 2 shown]
	ds_write_b96 v92, v[4:6]
	ds_write_b16 v92, v39 offset:12
	v_pack_b32_f16 v6, v27, v28
	v_pack_b32_f16 v5, v105, v106
	;; [unrolled: 1-line block ×3, first 2 shown]
	v_add_f16_e32 v29, v29, v75
	ds_write_b96 v104, v[4:6]
	ds_write_b16 v104, v29 offset:12
	v_pack_b32_f16 v6, v60, v71
	v_pack_b32_f16 v5, v77, v108
	v_pack_b32_f16 v4, v62, v76
	ds_write_b96 v107, v[4:6]
	ds_write_b16 v107, v22 offset:12
	s_waitcnt lgkmcnt(0)
	; wave barrier
	s_waitcnt lgkmcnt(0)
	ds_read_u16 v53, v19
	ds_read_u16 v72, v18 offset:70
	ds_read_u16 v0, v18 offset:104
	;; [unrolled: 1-line block ×31, first 2 shown]
	ds_read_u16 v25, v20
	ds_read_u16 v114, v18 offset:1154
                                        ; implicit-def: $vgpr135
                                        ; implicit-def: $vgpr134
                                        ; implicit-def: $vgpr133
                                        ; implicit-def: $vgpr132
                                        ; implicit-def: $vgpr131
                                        ; implicit-def: $vgpr129
                                        ; implicit-def: $vgpr128
                                        ; implicit-def: $vgpr126
                                        ; implicit-def: $vgpr121
                                        ; implicit-def: $vgpr80
                                        ; implicit-def: $vgpr122
                                        ; implicit-def: $vgpr123
                                        ; implicit-def: $vgpr124
                                        ; implicit-def: $vgpr125
                                        ; implicit-def: $vgpr127
                                        ; implicit-def: $vgpr130
	s_and_saveexec_b64 s[2:3], s[0:1]
	s_cbranch_execz .LBB0_16
; %bb.15:
	ds_read_u16 v22, v2 offset:68
	ds_read_u16 v135, v2 offset:138
	;; [unrolled: 1-line block ×17, first 2 shown]
.LBB0_16:
	s_or_b64 exec, exec, s[2:3]
	v_mov_b32_e32 v152, 37
	v_mul_lo_u16_sdwa v2, v10, v152 dst_sel:DWORD dst_unused:UNUSED_PAD src0_sel:BYTE_0 src1_sel:DWORD
	v_sub_u16_sdwa v76, v10, v2 dst_sel:DWORD dst_unused:UNUSED_PAD src0_sel:DWORD src1_sel:BYTE_1
	v_lshrrev_b16_e32 v76, 1, v76
	v_and_b32_e32 v76, 0x7f, v76
	v_add_u16_sdwa v2, v76, v2 dst_sel:DWORD dst_unused:UNUSED_PAD src0_sel:DWORD src1_sel:BYTE_1
	v_lshrrev_b16_e32 v118, 2, v2
	v_mul_lo_u16_e32 v2, 7, v118
	v_sub_u16_e32 v119, v10, v2
	v_mov_b32_e32 v153, 6
	v_lshlrev_b32_sdwa v2, v153, v119 dst_sel:DWORD dst_unused:UNUSED_PAD src0_sel:DWORD src1_sel:BYTE_0
	global_load_dwordx4 v[136:139], v2, s[4:5]
	global_load_dwordx4 v[140:143], v2, s[4:5] offset:16
	global_load_dwordx4 v[144:147], v2, s[4:5] offset:32
	;; [unrolled: 1-line block ×3, first 2 shown]
	v_mul_lo_u16_sdwa v76, v14, v152 dst_sel:DWORD dst_unused:UNUSED_PAD src0_sel:BYTE_0 src1_sel:DWORD
	v_sub_u16_sdwa v77, v14, v76 dst_sel:DWORD dst_unused:UNUSED_PAD src0_sel:DWORD src1_sel:BYTE_1
	v_lshrrev_b16_e32 v77, 1, v77
	v_and_b32_e32 v77, 0x7f, v77
	v_add_u16_sdwa v76, v77, v76 dst_sel:DWORD dst_unused:UNUSED_PAD src0_sel:DWORD src1_sel:BYTE_1
	v_lshrrev_b16_e32 v117, 2, v76
	s_movk_i32 s6, 0x3b76
	s_movk_i32 s7, 0x39e9
	;; [unrolled: 1-line block ×4, first 2 shown]
	s_mov_b32 s12, 0xb461
	s_mov_b32 s13, 0xb8d2
	;; [unrolled: 1-line block ×4, first 2 shown]
	s_movk_i32 s2, 0xee
	v_mad_u32_u24 v118, v118, s2, 0
	s_mov_b32 s26, 0xb5c8
	s_mov_b32 s23, 0xb964
	;; [unrolled: 1-line block ×8, first 2 shown]
	s_movk_i32 s28, 0x3836
	s_movk_i32 s20, 0x3bb2
	;; [unrolled: 1-line block ×8, first 2 shown]
	s_waitcnt vmcnt(3) lgkmcnt(14)
	v_mul_f16_sdwa v2, v72, v136 dst_sel:DWORD dst_unused:UNUSED_PAD src0_sel:DWORD src1_sel:WORD_1
	v_fma_f16 v95, v90, v136, v2
	v_mul_f16_sdwa v2, v90, v136 dst_sel:DWORD dst_unused:UNUSED_PAD src0_sel:DWORD src1_sel:WORD_1
	v_fma_f16 v96, v72, v136, -v2
	v_mul_f16_sdwa v2, v71, v137 dst_sel:DWORD dst_unused:UNUSED_PAD src0_sel:DWORD src1_sel:WORD_1
	v_fma_f16 v90, v85, v137, v2
	v_mul_f16_sdwa v2, v85, v137 dst_sel:DWORD dst_unused:UNUSED_PAD src0_sel:DWORD src1_sel:WORD_1
	v_fma_f16 v92, v71, v137, -v2
	;; [unrolled: 4-line block ×4, first 2 shown]
	v_mul_lo_u16_e32 v2, 7, v117
	v_sub_u16_e32 v120, v14, v2
	v_lshlrev_b32_sdwa v2, v153, v120 dst_sel:DWORD dst_unused:UNUSED_PAD src0_sel:DWORD src1_sel:BYTE_0
	global_load_dwordx4 v[136:139], v2, s[4:5]
	s_waitcnt vmcnt(3)
	v_mul_f16_sdwa v70, v62, v140 dst_sel:DWORD dst_unused:UNUSED_PAD src0_sel:DWORD src1_sel:WORD_1
	v_mul_f16_sdwa v71, v87, v140 dst_sel:DWORD dst_unused:UNUSED_PAD src0_sel:DWORD src1_sel:WORD_1
	v_fma_f16 v87, v87, v140, v70
	v_mul_f16_sdwa v70, v97, v141 dst_sel:DWORD dst_unused:UNUSED_PAD src0_sel:DWORD src1_sel:WORD_1
	v_fma_f16 v88, v62, v140, -v71
	v_mul_f16_sdwa v62, v52, v142 dst_sel:DWORD dst_unused:UNUSED_PAD src0_sel:DWORD src1_sel:WORD_1
	v_mul_f16_sdwa v72, v60, v141 dst_sel:DWORD dst_unused:UNUSED_PAD src0_sel:DWORD src1_sel:WORD_1
	;; [unrolled: 1-line block ×3, first 2 shown]
	v_fma_f16 v78, v60, v141, -v70
	v_mul_f16_sdwa v60, v40, v143 dst_sel:DWORD dst_unused:UNUSED_PAD src0_sel:DWORD src1_sel:WORD_1
	v_fma_f16 v70, v91, v142, v62
	v_mul_f16_sdwa v62, v81, v143 dst_sel:DWORD dst_unused:UNUSED_PAD src0_sel:DWORD src1_sel:WORD_1
	v_fma_f16 v77, v97, v141, v72
	v_fma_f16 v72, v52, v142, -v71
	v_fma_f16 v60, v81, v143, v60
	v_fma_f16 v62, v40, v143, -v62
	global_load_dwordx4 v[140:143], v2, s[4:5] offset:16
	s_waitcnt vmcnt(3)
	v_mul_f16_sdwa v52, v69, v144 dst_sel:DWORD dst_unused:UNUSED_PAD src0_sel:DWORD src1_sel:WORD_1
	s_waitcnt lgkmcnt(11)
	v_mul_f16_sdwa v40, v39, v144 dst_sel:DWORD dst_unused:UNUSED_PAD src0_sel:DWORD src1_sel:WORD_1
	v_fma_f16 v71, v39, v144, -v52
	v_mul_f16_sdwa v39, v7, v146 dst_sel:DWORD dst_unused:UNUSED_PAD src0_sel:DWORD src1_sel:WORD_1
	v_mul_f16_sdwa v81, v33, v145 dst_sel:DWORD dst_unused:UNUSED_PAD src0_sel:DWORD src1_sel:WORD_1
	v_fma_f16 v69, v69, v144, v40
	v_mul_f16_sdwa v40, v79, v145 dst_sel:DWORD dst_unused:UNUSED_PAD src0_sel:DWORD src1_sel:WORD_1
	v_mul_f16_sdwa v52, v89, v146 dst_sel:DWORD dst_unused:UNUSED_PAD src0_sel:DWORD src1_sel:WORD_1
	v_fma_f16 v89, v89, v146, v39
	v_mul_f16_sdwa v39, v63, v147 dst_sel:DWORD dst_unused:UNUSED_PAD src0_sel:DWORD src1_sel:WORD_1
	v_fma_f16 v79, v79, v145, v81
	v_fma_f16 v81, v33, v145, -v40
	v_mul_f16_sdwa v33, v5, v147 dst_sel:DWORD dst_unused:UNUSED_PAD src0_sel:DWORD src1_sel:WORD_1
	v_fma_f16 v91, v7, v146, -v52
	v_fma_f16 v99, v5, v147, -v39
	s_waitcnt vmcnt(2) lgkmcnt(3)
	v_mul_f16_sdwa v5, v34, v148 dst_sel:DWORD dst_unused:UNUSED_PAD src0_sel:DWORD src1_sel:WORD_1
	v_mul_f16_sdwa v7, v94, v148 dst_sel:DWORD dst_unused:UNUSED_PAD src0_sel:DWORD src1_sel:WORD_1
	v_fma_f16 v97, v63, v147, v33
	v_mul_f16_sdwa v33, v30, v149 dst_sel:DWORD dst_unused:UNUSED_PAD src0_sel:DWORD src1_sel:WORD_1
	v_fma_f16 v103, v94, v148, v5
	v_mul_f16_sdwa v5, v64, v149 dst_sel:DWORD dst_unused:UNUSED_PAD src0_sel:DWORD src1_sel:WORD_1
	v_fma_f16 v104, v34, v148, -v7
	v_mul_f16_sdwa v7, v6, v150 dst_sel:DWORD dst_unused:UNUSED_PAD src0_sel:DWORD src1_sel:WORD_1
	v_fma_f16 v107, v64, v149, v33
	v_mul_f16_sdwa v33, v58, v150 dst_sel:DWORD dst_unused:UNUSED_PAD src0_sel:DWORD src1_sel:WORD_1
	v_fma_f16 v108, v30, v149, -v5
	;; [unrolled: 4-line block ×3, first 2 shown]
	v_fma_f16 v115, v56, v151, v5
	v_fma_f16 v116, v4, v151, -v7
	global_load_dwordx4 v[4:7], v2, s[4:5] offset:32
	s_waitcnt vmcnt(2)
	v_mul_f16_sdwa v30, v0, v136 dst_sel:DWORD dst_unused:UNUSED_PAD src0_sel:DWORD src1_sel:WORD_1
	v_fma_f16 v63, v46, v136, v30
	v_mul_f16_sdwa v30, v46, v136 dst_sel:DWORD dst_unused:UNUSED_PAD src0_sel:DWORD src1_sel:WORD_1
	v_fma_f16 v64, v0, v136, -v30
	v_mul_f16_sdwa v0, v3, v137 dst_sel:DWORD dst_unused:UNUSED_PAD src0_sel:DWORD src1_sel:WORD_1
	v_fma_f16 v56, v51, v137, v0
	v_mul_f16_sdwa v0, v51, v137 dst_sel:DWORD dst_unused:UNUSED_PAD src0_sel:DWORD src1_sel:WORD_1
	v_fma_f16 v58, v3, v137, -v0
	;; [unrolled: 4-line block ×4, first 2 shown]
	global_load_dwordx4 v[0:3], v2, s[4:5] offset:48
	s_waitcnt vmcnt(2)
	v_mul_f16_sdwa v29, v27, v140 dst_sel:DWORD dst_unused:UNUSED_PAD src0_sel:DWORD src1_sel:WORD_1
	v_fma_f16 v39, v84, v140, v29
	v_mul_f16_sdwa v29, v84, v140 dst_sel:DWORD dst_unused:UNUSED_PAD src0_sel:DWORD src1_sel:WORD_1
	v_fma_f16 v40, v27, v140, -v29
	v_mul_f16_sdwa v27, v26, v141 dst_sel:DWORD dst_unused:UNUSED_PAD src0_sel:DWORD src1_sel:WORD_1
	v_fma_f16 v33, v74, v141, v27
	v_mul_f16_sdwa v27, v74, v141 dst_sel:DWORD dst_unused:UNUSED_PAD src0_sel:DWORD src1_sel:WORD_1
	v_fma_f16 v34, v26, v141, -v27
	;; [unrolled: 4-line block ×4, first 2 shown]
	s_waitcnt vmcnt(1)
	v_mul_f16_sdwa v23, v109, v4 dst_sel:DWORD dst_unused:UNUSED_PAD src0_sel:DWORD src1_sel:WORD_1
	v_fma_f16 v28, v61, v4, v23
	v_mul_lo_u16_sdwa v23, v15, v152 dst_sel:DWORD dst_unused:UNUSED_PAD src0_sel:BYTE_0 src1_sel:DWORD
	v_sub_u16_sdwa v73, v15, v23 dst_sel:DWORD dst_unused:UNUSED_PAD src0_sel:DWORD src1_sel:BYTE_1
	v_lshrrev_b16_e32 v73, 1, v73
	v_and_b32_e32 v73, 0x7f, v73
	v_add_u16_sdwa v23, v73, v23 dst_sel:DWORD dst_unused:UNUSED_PAD src0_sel:DWORD src1_sel:BYTE_1
	v_lshrrev_b16_e32 v23, 2, v23
	v_mul_lo_u16_e32 v23, 7, v23
	v_sub_u16_e32 v23, v15, v23
	v_lshlrev_b32_sdwa v144, v153, v23 dst_sel:DWORD dst_unused:UNUSED_PAD src0_sel:DWORD src1_sel:BYTE_0
	global_load_dwordx4 v[136:139], v144, s[4:5]
	v_mul_f16_sdwa v61, v61, v4 dst_sel:DWORD dst_unused:UNUSED_PAD src0_sel:DWORD src1_sel:WORD_1
	v_fma_f16 v61, v109, v4, -v61
	v_mul_f16_sdwa v4, v105, v5 dst_sel:DWORD dst_unused:UNUSED_PAD src0_sel:DWORD src1_sel:WORD_1
	v_fma_f16 v73, v66, v5, v4
	v_mul_f16_sdwa v4, v66, v5 dst_sel:DWORD dst_unused:UNUSED_PAD src0_sel:DWORD src1_sel:WORD_1
	v_fma_f16 v74, v105, v5, -v4
	v_mul_f16_sdwa v4, v101, v6 dst_sel:DWORD dst_unused:UNUSED_PAD src0_sel:DWORD src1_sel:WORD_1
	v_fma_f16 v83, v65, v6, v4
	v_mul_f16_sdwa v4, v65, v6 dst_sel:DWORD dst_unused:UNUSED_PAD src0_sel:DWORD src1_sel:WORD_1
	v_fma_f16 v84, v101, v6, -v4
	s_waitcnt lgkmcnt(2)
	v_mul_f16_sdwa v4, v113, v7 dst_sel:DWORD dst_unused:UNUSED_PAD src0_sel:DWORD src1_sel:WORD_1
	v_fma_f16 v93, v67, v7, v4
	v_mul_f16_sdwa v4, v67, v7 dst_sel:DWORD dst_unused:UNUSED_PAD src0_sel:DWORD src1_sel:WORD_1
	v_fma_f16 v94, v113, v7, -v4
	global_load_dwordx4 v[4:7], v144, s[4:5] offset:16
	global_load_dwordx4 v[140:143], v144, s[4:5] offset:32
	s_nop 0
	global_load_dwordx4 v[144:147], v144, s[4:5] offset:48
	s_waitcnt lgkmcnt(0)
	; wave barrier
	s_waitcnt vmcnt(4) lgkmcnt(0)
	v_mul_f16_sdwa v65, v102, v0 dst_sel:DWORD dst_unused:UNUSED_PAD src0_sel:DWORD src1_sel:WORD_1
	v_fma_f16 v101, v55, v0, v65
	v_mul_f16_sdwa v55, v55, v0 dst_sel:DWORD dst_unused:UNUSED_PAD src0_sel:DWORD src1_sel:WORD_1
	v_fma_f16 v102, v102, v0, -v55
	v_mul_f16_sdwa v0, v106, v1 dst_sel:DWORD dst_unused:UNUSED_PAD src0_sel:DWORD src1_sel:WORD_1
	v_fma_f16 v105, v54, v1, v0
	v_mul_f16_sdwa v0, v54, v1 dst_sel:DWORD dst_unused:UNUSED_PAD src0_sel:DWORD src1_sel:WORD_1
	v_fma_f16 v106, v106, v1, -v0
	v_mul_f16_sdwa v0, v110, v2 dst_sel:DWORD dst_unused:UNUSED_PAD src0_sel:DWORD src1_sel:WORD_1
	v_fma_f16 v109, v47, v2, v0
	v_mul_f16_sdwa v0, v47, v2 dst_sel:DWORD dst_unused:UNUSED_PAD src0_sel:DWORD src1_sel:WORD_1
	v_fma_f16 v110, v110, v2, -v0
	v_mul_f16_sdwa v0, v114, v3 dst_sel:DWORD dst_unused:UNUSED_PAD src0_sel:DWORD src1_sel:WORD_1
	v_fma_f16 v113, v49, v3, v0
	v_mul_f16_sdwa v0, v49, v3 dst_sel:DWORD dst_unused:UNUSED_PAD src0_sel:DWORD src1_sel:WORD_1
	v_fma_f16 v114, v114, v3, -v0
	v_sub_f16_e32 v154, v58, v110
	v_mul_f16_e32 v155, 0xb964, v154
	s_waitcnt vmcnt(3)
	v_mul_f16_sdwa v0, v135, v136 dst_sel:DWORD dst_unused:UNUSED_PAD src0_sel:DWORD src1_sel:WORD_1
	v_fma_f16 v65, v44, v136, v0
	v_mul_f16_sdwa v0, v44, v136 dst_sel:DWORD dst_unused:UNUSED_PAD src0_sel:DWORD src1_sel:WORD_1
	v_fma_f16 v67, v135, v136, -v0
	v_mul_f16_sdwa v0, v134, v137 dst_sel:DWORD dst_unused:UNUSED_PAD src0_sel:DWORD src1_sel:WORD_1
	v_fma_f16 v54, v43, v137, v0
	v_mul_f16_sdwa v0, v43, v137 dst_sel:DWORD dst_unused:UNUSED_PAD src0_sel:DWORD src1_sel:WORD_1
	v_fma_f16 v55, v134, v137, -v0
	;; [unrolled: 4-line block ×4, first 2 shown]
	s_waitcnt vmcnt(2)
	v_mul_f16_sdwa v0, v131, v4 dst_sel:DWORD dst_unused:UNUSED_PAD src0_sel:DWORD src1_sel:WORD_1
	v_fma_f16 v37, v31, v4, v0
	v_mul_f16_sdwa v0, v31, v4 dst_sel:DWORD dst_unused:UNUSED_PAD src0_sel:DWORD src1_sel:WORD_1
	v_fma_f16 v38, v131, v4, -v0
	v_mul_f16_sdwa v0, v129, v5 dst_sel:DWORD dst_unused:UNUSED_PAD src0_sel:DWORD src1_sel:WORD_1
	v_fma_f16 v31, v32, v5, v0
	v_mul_f16_sdwa v0, v32, v5 dst_sel:DWORD dst_unused:UNUSED_PAD src0_sel:DWORD src1_sel:WORD_1
	v_fma_f16 v32, v129, v5, -v0
	v_mul_f16_sdwa v0, v128, v6 dst_sel:DWORD dst_unused:UNUSED_PAD src0_sel:DWORD src1_sel:WORD_1
	v_fma_f16 v4, v48, v6, v0
	v_mul_f16_sdwa v0, v48, v6 dst_sel:DWORD dst_unused:UNUSED_PAD src0_sel:DWORD src1_sel:WORD_1
	s_waitcnt vmcnt(1)
	v_mul_f16_sdwa v2, v130, v140 dst_sel:DWORD dst_unused:UNUSED_PAD src0_sel:DWORD src1_sel:WORD_1
	s_waitcnt vmcnt(0)
	v_mul_f16_sdwa v66, v80, v146 dst_sel:DWORD dst_unused:UNUSED_PAD src0_sel:DWORD src1_sel:WORD_1
	v_fma_f16 v5, v128, v6, -v0
	v_mul_f16_sdwa v0, v126, v7 dst_sel:DWORD dst_unused:UNUSED_PAD src0_sel:DWORD src1_sel:WORD_1
	v_fma_f16 v2, v57, v140, v2
	v_mul_f16_sdwa v3, v57, v140 dst_sel:DWORD dst_unused:UNUSED_PAD src0_sel:DWORD src1_sel:WORD_1
	v_mul_f16_sdwa v57, v122, v145 dst_sel:DWORD dst_unused:UNUSED_PAD src0_sel:DWORD src1_sel:WORD_1
	v_fma_f16 v66, v68, v146, v66
	v_mul_f16_sdwa v68, v68, v146 dst_sel:DWORD dst_unused:UNUSED_PAD src0_sel:DWORD src1_sel:WORD_1
	v_fma_f16 v0, v35, v7, v0
	v_mul_f16_sdwa v1, v35, v7 dst_sel:DWORD dst_unused:UNUSED_PAD src0_sel:DWORD src1_sel:WORD_1
	v_mul_f16_sdwa v6, v127, v141 dst_sel:DWORD dst_unused:UNUSED_PAD src0_sel:DWORD src1_sel:WORD_1
	;; [unrolled: 1-line block ×4, first 2 shown]
	v_fma_f16 v57, v59, v145, v57
	v_mul_f16_sdwa v59, v59, v145 dst_sel:DWORD dst_unused:UNUSED_PAD src0_sel:DWORD src1_sel:WORD_1
	v_fma_f16 v68, v80, v146, -v68
	v_mul_f16_sdwa v80, v121, v147 dst_sel:DWORD dst_unused:UNUSED_PAD src0_sel:DWORD src1_sel:WORD_1
	v_fma_f16 v1, v126, v7, -v1
	v_fma_f16 v6, v41, v141, v6
	v_mul_f16_sdwa v7, v41, v141 dst_sel:DWORD dst_unused:UNUSED_PAD src0_sel:DWORD src1_sel:WORD_1
	v_fma_f16 v35, v36, v142, v35
	v_mul_f16_sdwa v36, v36, v142 dst_sel:DWORD dst_unused:UNUSED_PAD src0_sel:DWORD src1_sel:WORD_1
	v_mul_f16_sdwa v41, v124, v143 dst_sel:DWORD dst_unused:UNUSED_PAD src0_sel:DWORD src1_sel:WORD_1
	v_fma_f16 v48, v50, v144, v48
	v_mul_f16_sdwa v50, v50, v144 dst_sel:DWORD dst_unused:UNUSED_PAD src0_sel:DWORD src1_sel:WORD_1
	v_fma_f16 v59, v122, v145, -v59
	v_fma_f16 v80, v82, v147, v80
	v_mul_f16_sdwa v82, v82, v147 dst_sel:DWORD dst_unused:UNUSED_PAD src0_sel:DWORD src1_sel:WORD_1
	v_sub_f16_e32 v122, v96, v116
	v_fma_f16 v7, v127, v141, -v7
	v_fma_f16 v36, v125, v142, -v36
	v_fma_f16 v41, v42, v143, v41
	v_mul_f16_sdwa v42, v42, v143 dst_sel:DWORD dst_unused:UNUSED_PAD src0_sel:DWORD src1_sel:WORD_1
	v_fma_f16 v50, v123, v144, -v50
	v_fma_f16 v82, v121, v147, -v82
	v_add_f16_e32 v121, v95, v115
	v_mul_f16_e32 v123, 0xb5c8, v122
	v_mul_f16_e32 v125, 0xb964, v122
	;; [unrolled: 1-line block ×8, first 2 shown]
	v_sub_f16_e32 v138, v92, v112
	v_fma_f16 v3, v130, v140, -v3
	v_fma_f16 v42, v124, v143, -v42
	v_fma_f16 v124, v121, s6, v123
	v_fma_f16 v123, v121, s6, -v123
	v_fma_f16 v126, v121, s7, v125
	v_fma_f16 v125, v121, s7, -v125
	v_fma_f16 v128, v121, s10, v127
	v_fma_f16 v127, v121, s10, -v127
	v_fma_f16 v130, v121, s11, v129
	v_fma_f16 v129, v121, s11, -v129
	v_fma_f16 v132, v121, s12, v131
	v_fma_f16 v131, v121, s12, -v131
	v_fma_f16 v134, v121, s13, v133
	v_fma_f16 v133, v121, s13, -v133
	v_fma_f16 v136, v121, s14, v135
	v_fma_f16 v135, v121, s14, -v135
	v_fma_f16 v137, v121, s15, v122
	v_fma_f16 v121, v121, s15, -v122
	v_add_f16_e32 v122, v90, v111
	v_mul_f16_e32 v139, 0xb964, v138
	v_fma_f16 v140, v122, s7, v139
	v_add_f16_e32 v123, v100, v123
	v_fma_f16 v139, v122, s7, -v139
	v_add_f16_e32 v124, v100, v124
	v_add_f16_e32 v123, v139, v123
	v_mul_f16_e32 v139, 0xbbf7, v138
	v_add_f16_e32 v124, v140, v124
	v_fma_f16 v140, v122, s11, v139
	v_add_f16_e32 v125, v100, v125
	v_fma_f16 v139, v122, s11, -v139
	v_add_f16_e32 v126, v100, v126
	v_add_f16_e32 v125, v139, v125
	v_mul_f16_e32 v139, 0xba62, v138
	v_add_f16_e32 v126, v140, v126
	;; [unrolled: 7-line block ×6, first 2 shown]
	v_fma_f16 v140, v122, s10, v139
	v_add_f16_e32 v135, v100, v135
	v_fma_f16 v139, v122, s10, -v139
	v_mul_f16_e32 v138, 0x35c8, v138
	v_add_f16_e32 v135, v139, v135
	v_add_f16_e32 v137, v100, v137
	v_fma_f16 v139, v122, s6, v138
	v_fma_f16 v122, v122, s6, -v138
	v_add_f16_e32 v121, v100, v121
	v_sub_f16_e32 v138, v86, v108
	v_add_f16_e32 v136, v100, v136
	v_add_f16_e32 v137, v139, v137
	;; [unrolled: 1-line block ×4, first 2 shown]
	v_mul_f16_e32 v139, 0xbb29, v138
	v_add_f16_e32 v136, v140, v136
	v_fma_f16 v140, v122, s10, v139
	v_fma_f16 v139, v122, s10, -v139
	v_add_f16_e32 v123, v139, v123
	v_mul_f16_e32 v139, 0xba62, v138
	v_add_f16_e32 v124, v140, v124
	v_fma_f16 v140, v122, s13, v139
	v_fma_f16 v139, v122, s13, -v139
	v_add_f16_e32 v125, v139, v125
	v_mul_f16_e32 v139, 0x31e1, v138
	v_add_f16_e32 v126, v140, v126
	v_fma_f16 v140, v122, s15, v139
	v_fma_f16 v139, v122, s15, -v139
	v_add_f16_e32 v127, v139, v127
	v_mul_f16_e32 v139, 0x3bb2, v138
	v_add_f16_e32 v128, v140, v128
	v_fma_f16 v140, v122, s12, v139
	v_fma_f16 v139, v122, s12, -v139
	v_add_f16_e32 v129, v139, v129
	v_mul_f16_e32 v139, 0x3964, v138
	v_add_f16_e32 v130, v140, v130
	v_fma_f16 v140, v122, s7, v139
	v_fma_f16 v139, v122, s7, -v139
	v_add_f16_e32 v131, v139, v131
	v_mul_f16_e32 v139, 0xb5c8, v138
	v_add_f16_e32 v132, v140, v132
	v_fma_f16 v140, v122, s6, v139
	v_fma_f16 v139, v122, s6, -v139
	v_add_f16_e32 v133, v139, v133
	v_mul_f16_e32 v139, 0xbbf7, v138
	v_add_f16_e32 v134, v140, v134
	v_fma_f16 v140, v122, s11, v139
	v_fma_f16 v139, v122, s11, -v139
	v_mul_f16_e32 v138, 0xb836, v138
	v_add_f16_e32 v135, v139, v135
	v_fma_f16 v139, v122, s14, v138
	v_fma_f16 v122, v122, s14, -v138
	v_sub_f16_e32 v138, v76, v104
	v_add_f16_e32 v137, v139, v137
	v_add_f16_e32 v121, v122, v121
	v_add_f16_e32 v122, v75, v103
	v_mul_f16_e32 v139, 0xbbf7, v138
	v_add_f16_e32 v136, v140, v136
	v_fma_f16 v140, v122, s11, v139
	v_fma_f16 v139, v122, s11, -v139
	v_add_f16_e32 v123, v139, v123
	v_mul_f16_e32 v139, 0xb1e1, v138
	v_add_f16_e32 v124, v140, v124
	v_fma_f16 v140, v122, s15, v139
	v_fma_f16 v139, v122, s15, -v139
	v_add_f16_e32 v125, v139, v125
	v_mul_f16_e32 v139, 0x3bb2, v138
	v_add_f16_e32 v126, v140, v126
	v_fma_f16 v140, v122, s12, v139
	v_fma_f16 v139, v122, s12, -v139
	v_add_f16_e32 v127, v139, v127
	v_mul_f16_e32 v139, 0x35c8, v138
	v_add_f16_e32 v128, v140, v128
	v_fma_f16 v140, v122, s6, v139
	v_fma_f16 v139, v122, s6, -v139
	v_add_f16_e32 v129, v139, v129
	v_mul_f16_e32 v139, 0xbb29, v138
	v_add_f16_e32 v130, v140, v130
	v_fma_f16 v140, v122, s10, v139
	v_fma_f16 v139, v122, s10, -v139
	v_add_f16_e32 v131, v139, v131
	v_mul_f16_e32 v139, 0xb836, v138
	v_add_f16_e32 v132, v140, v132
	v_fma_f16 v140, v122, s14, v139
	v_fma_f16 v139, v122, s14, -v139
	v_add_f16_e32 v133, v139, v133
	v_mul_f16_e32 v139, 0x3a62, v138
	v_add_f16_e32 v134, v140, v134
	v_fma_f16 v140, v122, s13, v139
	v_fma_f16 v139, v122, s13, -v139
	v_mul_f16_e32 v138, 0x3964, v138
	v_add_f16_e32 v135, v139, v135
	v_fma_f16 v139, v122, s7, v138
	v_fma_f16 v122, v122, s7, -v138
	v_sub_f16_e32 v138, v88, v99
	v_add_f16_e32 v137, v139, v137
	v_add_f16_e32 v121, v122, v121
	v_add_f16_e32 v122, v87, v97
	v_mul_f16_e32 v139, 0xbbb2, v138
	v_add_f16_e32 v136, v140, v136
	v_fma_f16 v140, v122, s12, v139
	v_fma_f16 v139, v122, s12, -v139
	v_add_f16_e32 v123, v139, v123
	v_mul_f16_e32 v139, 0x3836, v138
	v_add_f16_e32 v124, v140, v124
	v_fma_f16 v140, v122, s14, v139
	v_fma_f16 v139, v122, s14, -v139
	v_add_f16_e32 v125, v139, v125
	v_mul_f16_e32 v139, 0x3964, v138
	v_add_f16_e32 v126, v140, v126
	v_fma_f16 v140, v122, s7, v139
	v_fma_f16 v139, v122, s7, -v139
	v_add_f16_e32 v127, v139, v127
	v_mul_f16_e32 v139, 0xbb29, v138
	v_add_f16_e32 v128, v140, v128
	v_fma_f16 v140, v122, s10, v139
	v_fma_f16 v139, v122, s10, -v139
	v_add_f16_e32 v129, v139, v129
	v_mul_f16_e32 v139, 0xb1e1, v138
	v_add_f16_e32 v130, v140, v130
	v_fma_f16 v140, v122, s15, v139
	v_fma_f16 v139, v122, s15, -v139
	v_add_f16_e32 v131, v139, v131
	v_mul_f16_e32 v139, 0x3bf7, v138
	v_add_f16_e32 v132, v140, v132
	v_fma_f16 v140, v122, s11, v139
	v_fma_f16 v139, v122, s11, -v139
	v_add_f16_e32 v133, v139, v133
	v_mul_f16_e32 v139, 0xb5c8, v138
	v_add_f16_e32 v134, v140, v134
	v_fma_f16 v140, v122, s6, v139
	v_fma_f16 v139, v122, s6, -v139
	v_mul_f16_e32 v138, 0xba62, v138
	v_add_f16_e32 v135, v139, v135
	v_fma_f16 v139, v122, s13, v138
	v_fma_f16 v122, v122, s13, -v138
	v_sub_f16_e32 v138, v78, v91
	v_add_f16_e32 v137, v139, v137
	v_add_f16_e32 v121, v122, v121
	v_add_f16_e32 v122, v77, v89
	v_mul_f16_e32 v139, 0xba62, v138
	v_add_f16_e32 v136, v140, v136
	v_fma_f16 v140, v122, s13, v139
	v_fma_f16 v139, v122, s13, -v139
	v_add_f16_e32 v123, v139, v123
	v_mul_f16_e32 v139, 0x3bb2, v138
	v_add_f16_e32 v124, v140, v124
	v_fma_f16 v140, v122, s12, v139
	v_fma_f16 v139, v122, s12, -v139
	v_add_f16_e32 v125, v139, v125
	v_mul_f16_e32 v139, 0xb5c8, v138
	v_add_f16_e32 v126, v140, v126
	v_fma_f16 v140, v122, s6, v139
	v_fma_f16 v139, v122, s6, -v139
	v_add_f16_e32 v127, v139, v127
	v_mul_f16_e32 v139, 0xb836, v138
	v_add_f16_e32 v128, v140, v128
	v_fma_f16 v140, v122, s14, v139
	v_fma_f16 v139, v122, s14, -v139
	v_add_f16_e32 v129, v139, v129
	v_mul_f16_e32 v139, 0x3bf7, v138
	v_add_f16_e32 v130, v140, v130
	v_fma_f16 v140, v122, s11, v139
	v_fma_f16 v139, v122, s11, -v139
	v_add_f16_e32 v131, v139, v131
	v_mul_f16_e32 v139, 0xb964, v138
	v_add_f16_e32 v132, v140, v132
	v_fma_f16 v140, v122, s7, v139
	v_fma_f16 v139, v122, s7, -v139
	v_add_f16_e32 v133, v139, v133
	v_mul_f16_e32 v139, 0xb1e1, v138
	v_add_f16_e32 v134, v140, v134
	v_fma_f16 v140, v122, s15, v139
	v_fma_f16 v139, v122, s15, -v139
	v_mul_f16_e32 v138, 0x3b29, v138
	v_add_f16_e32 v135, v139, v135
	v_fma_f16 v139, v122, s10, v138
	v_fma_f16 v122, v122, s10, -v138
	v_sub_f16_e32 v138, v72, v81
	v_add_f16_e32 v137, v139, v137
	v_add_f16_e32 v121, v122, v121
	v_add_f16_e32 v122, v70, v79
	v_mul_f16_e32 v139, 0xb836, v138
	v_add_f16_e32 v136, v140, v136
	v_fma_f16 v140, v122, s14, v139
	v_fma_f16 v139, v122, s14, -v139
	v_add_f16_e32 v123, v139, v123
	v_mul_f16_e32 v139, 0x3b29, v138
	v_add_f16_e32 v124, v140, v124
	v_fma_f16 v140, v122, s10, v139
	v_fma_f16 v139, v122, s10, -v139
	v_add_f16_e32 v125, v139, v125
	v_mul_f16_e32 v139, 0xbbf7, v138
	v_add_f16_e32 v126, v140, v126
	v_fma_f16 v140, v122, s11, v139
	v_fma_f16 v139, v122, s11, -v139
	v_add_f16_e32 v127, v139, v127
	v_mul_f16_e32 v139, 0x3a62, v138
	v_add_f16_e32 v128, v140, v128
	v_fma_f16 v140, v122, s13, v139
	v_fma_f16 v139, v122, s13, -v139
	v_add_f16_e32 v129, v139, v129
	v_mul_f16_e32 v139, 0xb5c8, v138
	v_add_f16_e32 v130, v140, v130
	v_fma_f16 v140, v122, s6, v139
	v_fma_f16 v139, v122, s6, -v139
	v_add_f16_e32 v131, v139, v131
	v_mul_f16_e32 v139, 0xb1e1, v138
	v_add_f16_e32 v132, v140, v132
	v_fma_f16 v140, v122, s15, v139
	v_fma_f16 v139, v122, s15, -v139
	v_add_f16_e32 v133, v139, v133
	v_mul_f16_e32 v139, 0x3964, v138
	v_add_f16_e32 v134, v140, v134
	v_fma_f16 v140, v122, s7, v139
	v_fma_f16 v139, v122, s7, -v139
	v_mul_f16_e32 v138, 0xbbb2, v138
	v_add_f16_e32 v135, v139, v135
	v_fma_f16 v139, v122, s12, v138
	v_fma_f16 v122, v122, s12, -v138
	v_sub_f16_e32 v138, v62, v71
	v_add_f16_e32 v137, v139, v137
	v_add_f16_e32 v121, v122, v121
	v_add_f16_e32 v122, v60, v69
	v_mul_f16_e32 v139, 0xb1e1, v138
	v_add_f16_e32 v136, v140, v136
	v_fma_f16 v140, v122, s15, v139
	v_fma_f16 v139, v122, s15, -v139
	v_add_f16_e32 v123, v139, v123
	v_mul_f16_e32 v139, 0x35c8, v138
	v_add_f16_e32 v124, v140, v124
	v_fma_f16 v140, v122, s6, v139
	v_fma_f16 v139, v122, s6, -v139
	v_add_f16_e32 v125, v139, v125
	v_mul_f16_e32 v139, 0xb836, v138
	v_add_f16_e32 v126, v140, v126
	v_fma_f16 v140, v122, s14, v139
	v_fma_f16 v139, v122, s14, -v139
	v_add_f16_e32 v127, v139, v127
	v_mul_f16_e32 v139, 0x3964, v138
	v_add_f16_e32 v128, v140, v128
	v_fma_f16 v140, v122, s7, v139
	v_fma_f16 v139, v122, s7, -v139
	v_add_f16_e32 v129, v139, v129
	v_mul_f16_e32 v139, 0xba62, v138
	v_add_f16_e32 v130, v140, v130
	v_fma_f16 v140, v122, s13, v139
	v_fma_f16 v139, v122, s13, -v139
	v_add_f16_e32 v131, v139, v131
	v_mul_f16_e32 v139, 0x3b29, v138
	v_add_f16_e32 v132, v140, v132
	v_fma_f16 v140, v122, s10, v139
	v_fma_f16 v139, v122, s10, -v139
	v_add_f16_e32 v133, v139, v133
	v_mul_f16_e32 v139, 0xbbb2, v138
	v_add_f16_e32 v134, v140, v134
	v_fma_f16 v140, v122, s12, v139
	v_fma_f16 v139, v122, s12, -v139
	v_mul_f16_e32 v138, 0x3bf7, v138
	v_add_f16_e32 v135, v139, v135
	v_fma_f16 v139, v122, s11, v138
	v_fma_f16 v122, v122, s11, -v138
	v_sub_f16_e32 v138, v64, v114
	v_add_f16_e32 v137, v139, v137
	v_add_f16_e32 v122, v122, v121
	v_add_f16_e32 v121, v63, v113
	v_mul_f16_e32 v139, 0xb5c8, v138
	v_add_f16_e32 v136, v140, v136
	v_fma_f16 v140, v121, s6, v139
	v_mul_f16_e32 v141, 0xb964, v138
	v_mul_f16_e32 v143, 0xbb29, v138
	;; [unrolled: 1-line block ×7, first 2 shown]
	v_fma_f16 v139, v121, s6, -v139
	v_fma_f16 v142, v121, s7, v141
	v_fma_f16 v141, v121, s7, -v141
	v_fma_f16 v144, v121, s10, v143
	;; [unrolled: 2-line block ×7, first 2 shown]
	v_fma_f16 v121, v121, s15, -v138
	v_add_f16_e32 v138, v98, v140
	v_add_f16_e32 v140, v56, v109
	v_fma_f16 v156, v140, s7, v155
	v_add_f16_e32 v139, v98, v139
	v_fma_f16 v155, v140, s7, -v155
	v_add_f16_e32 v139, v155, v139
	v_mul_f16_e32 v155, 0xbbf7, v154
	v_add_f16_e32 v138, v156, v138
	v_fma_f16 v156, v140, s11, v155
	v_add_f16_e32 v141, v98, v141
	v_fma_f16 v155, v140, s11, -v155
	v_add_f16_e32 v142, v98, v142
	v_add_f16_e32 v141, v155, v141
	v_mul_f16_e32 v155, 0xba62, v154
	v_add_f16_e32 v142, v156, v142
	v_fma_f16 v156, v140, s13, v155
	v_add_f16_e32 v143, v98, v143
	v_fma_f16 v155, v140, s13, -v155
	v_add_f16_e32 v144, v98, v144
	;; [unrolled: 7-line block ×5, first 2 shown]
	v_add_f16_e32 v149, v155, v149
	v_mul_f16_e32 v155, 0x3b29, v154
	v_add_f16_e32 v150, v156, v150
	v_fma_f16 v156, v140, s10, v155
	v_add_f16_e32 v151, v98, v151
	v_fma_f16 v155, v140, s10, -v155
	v_mul_f16_e32 v154, 0x35c8, v154
	v_add_f16_e32 v151, v155, v151
	v_add_f16_e32 v153, v98, v153
	v_fma_f16 v155, v140, s6, v154
	v_fma_f16 v140, v140, s6, -v154
	v_add_f16_e32 v121, v98, v121
	v_sub_f16_e32 v154, v52, v106
	v_add_f16_e32 v152, v98, v152
	v_add_f16_e32 v153, v155, v153
	v_add_f16_e32 v121, v140, v121
	v_add_f16_e32 v140, v51, v105
	v_mul_f16_e32 v155, 0xbb29, v154
	v_add_f16_e32 v152, v156, v152
	v_fma_f16 v156, v140, s10, v155
	v_fma_f16 v155, v140, s10, -v155
	v_add_f16_e32 v139, v155, v139
	v_mul_f16_e32 v155, 0xba62, v154
	v_add_f16_e32 v138, v156, v138
	v_fma_f16 v156, v140, s13, v155
	v_fma_f16 v155, v140, s13, -v155
	v_add_f16_e32 v141, v155, v141
	v_mul_f16_e32 v155, 0x31e1, v154
	v_add_f16_e32 v142, v156, v142
	v_fma_f16 v156, v140, s15, v155
	v_fma_f16 v155, v140, s15, -v155
	v_add_f16_e32 v143, v155, v143
	v_mul_f16_e32 v155, 0x3bb2, v154
	v_add_f16_e32 v144, v156, v144
	v_fma_f16 v156, v140, s12, v155
	v_fma_f16 v155, v140, s12, -v155
	v_add_f16_e32 v145, v155, v145
	v_mul_f16_e32 v155, 0x3964, v154
	v_add_f16_e32 v146, v156, v146
	v_fma_f16 v156, v140, s7, v155
	v_fma_f16 v155, v140, s7, -v155
	v_add_f16_e32 v147, v155, v147
	v_mul_f16_e32 v155, 0xb5c8, v154
	v_add_f16_e32 v148, v156, v148
	v_fma_f16 v156, v140, s6, v155
	v_fma_f16 v155, v140, s6, -v155
	v_add_f16_e32 v149, v155, v149
	v_mul_f16_e32 v155, 0xbbf7, v154
	v_add_f16_e32 v150, v156, v150
	v_fma_f16 v156, v140, s11, v155
	v_fma_f16 v155, v140, s11, -v155
	v_mul_f16_e32 v154, 0xb836, v154
	v_add_f16_e32 v151, v155, v151
	v_fma_f16 v155, v140, s14, v154
	v_fma_f16 v140, v140, s14, -v154
	v_sub_f16_e32 v154, v46, v102
	v_add_f16_e32 v153, v155, v153
	v_add_f16_e32 v121, v140, v121
	v_add_f16_e32 v140, v45, v101
	v_mul_f16_e32 v155, 0xbbf7, v154
	v_add_f16_e32 v152, v156, v152
	v_fma_f16 v156, v140, s11, v155
	v_fma_f16 v155, v140, s11, -v155
	v_add_f16_e32 v139, v155, v139
	v_mul_f16_e32 v155, 0xb1e1, v154
	v_add_f16_e32 v138, v156, v138
	v_fma_f16 v156, v140, s15, v155
	v_fma_f16 v155, v140, s15, -v155
	v_add_f16_e32 v141, v155, v141
	v_mul_f16_e32 v155, 0x3bb2, v154
	v_add_f16_e32 v142, v156, v142
	v_fma_f16 v156, v140, s12, v155
	v_fma_f16 v155, v140, s12, -v155
	v_add_f16_e32 v143, v155, v143
	v_mul_f16_e32 v155, 0x35c8, v154
	v_add_f16_e32 v144, v156, v144
	v_fma_f16 v156, v140, s6, v155
	v_fma_f16 v155, v140, s6, -v155
	v_add_f16_e32 v145, v155, v145
	v_mul_f16_e32 v155, 0xbb29, v154
	v_add_f16_e32 v146, v156, v146
	v_fma_f16 v156, v140, s10, v155
	v_fma_f16 v155, v140, s10, -v155
	v_add_f16_e32 v147, v155, v147
	v_mul_f16_e32 v155, 0xb836, v154
	v_add_f16_e32 v148, v156, v148
	v_fma_f16 v156, v140, s14, v155
	v_fma_f16 v155, v140, s14, -v155
	v_add_f16_e32 v149, v155, v149
	v_mul_f16_e32 v155, 0x3a62, v154
	v_add_f16_e32 v150, v156, v150
	v_fma_f16 v156, v140, s13, v155
	v_fma_f16 v155, v140, s13, -v155
	v_mul_f16_e32 v154, 0x3964, v154
	v_add_f16_e32 v151, v155, v151
	v_fma_f16 v155, v140, s7, v154
	v_fma_f16 v140, v140, s7, -v154
	v_sub_f16_e32 v154, v40, v94
	v_add_f16_e32 v153, v155, v153
	v_add_f16_e32 v121, v140, v121
	v_add_f16_e32 v140, v39, v93
	;; [unrolled: 42-line block ×5, first 2 shown]
	v_mul_f16_e32 v155, 0xb1e1, v154
	v_add_f16_e32 v152, v156, v152
	v_fma_f16 v156, v140, s15, v155
	v_fma_f16 v155, v140, s15, -v155
	v_add_f16_e32 v139, v155, v139
	v_mul_f16_e32 v155, 0x35c8, v154
	v_add_f16_e32 v100, v100, v95
	v_add_f16_e32 v138, v156, v138
	v_fma_f16 v156, v140, s6, v155
	v_fma_f16 v155, v140, s6, -v155
	v_add_f16_e32 v100, v100, v90
	v_add_f16_e32 v98, v98, v63
	v_add_f16_e32 v141, v155, v141
	v_mul_f16_e32 v155, 0xb836, v154
	v_add_f16_e32 v100, v100, v85
	v_add_f16_e32 v98, v98, v56
	v_add_f16_e32 v142, v156, v142
	v_fma_f16 v156, v140, s14, v155
	v_fma_f16 v155, v140, s14, -v155
	v_add_f16_e32 v100, v100, v75
	v_add_f16_e32 v98, v98, v51
	v_add_f16_e32 v143, v155, v143
	v_mul_f16_e32 v155, 0x3964, v154
	v_add_f16_e32 v100, v100, v87
	;; [unrolled: 9-line block ×5, first 2 shown]
	v_add_f16_e32 v98, v98, v73
	v_add_f16_e32 v150, v156, v150
	v_fma_f16 v156, v140, s12, v155
	v_fma_f16 v155, v140, s12, -v155
	v_mul_f16_e32 v154, 0x3bf7, v154
	v_add_f16_e32 v100, v100, v97
	v_add_f16_e32 v98, v98, v83
	;; [unrolled: 1-line block ×3, first 2 shown]
	v_fma_f16 v155, v140, s11, v154
	v_fma_f16 v140, v140, s11, -v154
	v_add_f16_e32 v100, v100, v103
	v_add_f16_e32 v98, v98, v93
	v_add_f16_e32 v140, v140, v121
	v_mov_b32_e32 v121, 1
	v_add_f16_e32 v100, v100, v107
	v_add_f16_e32 v98, v98, v101
	v_lshlrev_b32_sdwa v119, v121, v119 dst_sel:DWORD dst_unused:UNUSED_PAD src0_sel:DWORD src1_sel:BYTE_0
	v_add_f16_e32 v100, v100, v111
	v_add_f16_e32 v98, v98, v105
	v_add3_u32 v118, v118, v119, v21
	v_add_f16_e32 v100, v100, v115
	v_add_f16_e32 v98, v98, v109
	ds_write_b16 v118, v100
	ds_write_b16 v118, v124 offset:14
	ds_write_b16 v118, v126 offset:28
	ds_write_b16 v118, v128 offset:42
	ds_write_b16 v118, v130 offset:56
	ds_write_b16 v118, v132 offset:70
	ds_write_b16 v118, v134 offset:84
	ds_write_b16 v118, v136 offset:98
	ds_write_b16 v118, v137 offset:112
	ds_write_b16 v118, v122 offset:126
	ds_write_b16 v118, v135 offset:140
	ds_write_b16 v118, v133 offset:154
	ds_write_b16 v118, v131 offset:168
	ds_write_b16 v118, v129 offset:182
	ds_write_b16 v118, v127 offset:196
	v_add_f16_e32 v100, v98, v113
	v_mad_u32_u24 v98, v117, s2, 0
	v_lshlrev_b32_sdwa v117, v121, v120 dst_sel:DWORD dst_unused:UNUSED_PAD src0_sel:DWORD src1_sel:BYTE_0
	v_add3_u32 v98, v98, v117, v21
	v_add_f16_e32 v152, v156, v152
	v_add_f16_e32 v153, v155, v153
	ds_write_b16 v118, v125 offset:210
	ds_write_b16 v118, v123 offset:224
	ds_write_b16 v98, v100
	ds_write_b16 v98, v138 offset:14
	ds_write_b16 v98, v142 offset:28
	;; [unrolled: 1-line block ×16, first 2 shown]
	s_and_saveexec_b64 s[2:3], s[0:1]
	s_cbranch_execz .LBB0_18
; %bb.17:
	v_sub_f16_e32 v119, v67, v82
	v_add_f16_e32 v117, v65, v80
	v_mul_f16_e32 v120, 0xb1e1, v119
	v_sub_f16_e32 v124, v55, v68
	v_fma_f16 v122, v117, s15, -v120
	v_add_f16_e32 v123, v54, v66
	v_mul_f16_e32 v125, 0x35c8, v124
	v_add_f16_e32 v122, v24, v122
	v_fma_f16 v126, v123, s6, -v125
	v_sub_f16_e32 v127, v49, v59
	v_add_f16_e32 v122, v126, v122
	v_add_f16_e32 v126, v47, v57
	v_mul_f16_e32 v128, 0xb836, v127
	v_fma_f16 v129, v126, s14, -v128
	v_sub_f16_e32 v130, v44, v50
	v_add_f16_e32 v122, v129, v122
	v_add_f16_e32 v129, v43, v48
	v_mul_f16_e32 v131, 0x3964, v130
	;; [unrolled: 5-line block ×3, first 2 shown]
	v_fma_f16 v120, v117, s15, v120
	v_fma_f16 v135, v132, s13, -v134
	v_sub_f16_e32 v136, v32, v36
	v_add_f16_e32 v120, v24, v120
	v_fma_f16 v125, v123, s6, v125
	v_add_f16_e32 v122, v135, v122
	v_add_f16_e32 v135, v31, v35
	v_mul_f16_e32 v137, 0x3b29, v136
	v_add_f16_e32 v120, v125, v120
	v_fma_f16 v125, v126, s14, v128
	v_fma_f16 v138, v135, s10, -v137
	v_sub_f16_e32 v139, v5, v7
	v_add_f16_e32 v120, v125, v120
	v_fma_f16 v125, v129, s7, v131
	v_add_f16_e32 v122, v138, v122
	v_add_f16_e32 v138, v4, v6
	v_mul_f16_e32 v140, 0xbbb2, v139
	v_add_f16_e32 v120, v125, v120
	;; [unrolled: 9-line block ×3, first 2 shown]
	v_fma_f16 v125, v138, s12, v140
	v_add_f16_e32 v120, v125, v120
	v_fma_f16 v125, v141, s11, v143
	v_add_f16_e32 v120, v125, v120
	v_mul_f16_e32 v125, 0xb836, v119
	v_fma_f16 v128, v117, s14, -v125
	v_mul_f16_e32 v131, 0x3b29, v124
	v_add_f16_e32 v128, v24, v128
	v_fma_f16 v134, v123, s10, -v131
	v_add_f16_e32 v128, v134, v128
	v_mul_f16_e32 v134, 0xbbf7, v127
	v_fma_f16 v137, v126, s11, -v134
	v_add_f16_e32 v128, v137, v128
	v_mul_f16_e32 v137, 0x3a62, v130
	v_fma_f16 v140, v129, s13, -v137
	v_add_f16_e32 v128, v140, v128
	v_mul_f16_e32 v140, 0xb5c8, v133
	v_fma_f16 v125, v117, s14, v125
	v_fma_f16 v144, v141, s11, -v143
	v_fma_f16 v143, v132, s6, -v140
	v_add_f16_e32 v125, v24, v125
	v_fma_f16 v131, v123, s10, v131
	v_add_f16_e32 v128, v143, v128
	v_mul_f16_e32 v143, 0xb1e1, v136
	v_add_f16_e32 v125, v131, v125
	v_fma_f16 v131, v126, s11, v134
	v_add_f16_e32 v122, v144, v122
	v_fma_f16 v144, v135, s15, -v143
	v_add_f16_e32 v125, v131, v125
	v_fma_f16 v131, v129, s13, v137
	v_add_f16_e32 v128, v144, v128
	v_mul_f16_e32 v144, 0x3964, v139
	v_add_f16_e32 v125, v131, v125
	v_fma_f16 v131, v132, s6, v140
	v_fma_f16 v145, v138, s7, -v144
	v_add_f16_e32 v125, v131, v125
	v_fma_f16 v131, v135, s15, v143
	v_add_f16_e32 v128, v145, v128
	v_mul_f16_e32 v145, 0xbbb2, v142
	v_add_f16_e32 v125, v131, v125
	v_fma_f16 v131, v138, s7, v144
	v_add_f16_e32 v125, v131, v125
	v_fma_f16 v131, v141, s12, v145
	v_add_f16_e32 v125, v131, v125
	v_mul_f16_e32 v131, 0xba62, v119
	v_fma_f16 v134, v117, s13, -v131
	v_mul_f16_e32 v137, 0x3bb2, v124
	v_add_f16_e32 v134, v24, v134
	v_fma_f16 v140, v123, s12, -v137
	v_add_f16_e32 v134, v140, v134
	v_mul_f16_e32 v140, 0xb5c8, v127
	v_fma_f16 v143, v126, s6, -v140
	v_add_f16_e32 v134, v143, v134
	v_mul_f16_e32 v143, 0xb836, v130
	v_fma_f16 v144, v129, s14, -v143
	v_add_f16_e32 v134, v144, v134
	v_mul_f16_e32 v144, 0x3bf7, v133
	v_fma_f16 v131, v117, s13, v131
	v_fma_f16 v146, v141, s12, -v145
	v_fma_f16 v145, v132, s11, -v144
	v_add_f16_e32 v131, v24, v131
	v_fma_f16 v137, v123, s12, v137
	v_add_f16_e32 v134, v145, v134
	v_mul_f16_e32 v145, 0xb964, v136
	v_add_f16_e32 v131, v137, v131
	v_fma_f16 v137, v126, s6, v140
	v_add_f16_e32 v128, v146, v128
	v_fma_f16 v146, v135, s7, -v145
	v_add_f16_e32 v131, v137, v131
	v_fma_f16 v137, v129, s14, v143
	v_add_f16_e32 v134, v146, v134
	v_mul_f16_e32 v146, 0xb1e1, v139
	v_add_f16_e32 v131, v137, v131
	v_fma_f16 v137, v132, s11, v144
	v_fma_f16 v147, v138, s15, -v146
	v_add_f16_e32 v131, v137, v131
	v_fma_f16 v137, v135, s7, v145
	v_add_f16_e32 v134, v147, v134
	v_mul_f16_e32 v147, 0x3b29, v142
	v_add_f16_e32 v131, v137, v131
	;; [unrolled: 40-line block ×5, first 2 shown]
	v_fma_f16 v147, v138, s11, v152
	v_add_f16_e32 v145, v147, v145
	v_fma_f16 v147, v141, s14, v153
	v_add_f16_e32 v145, v147, v145
	v_mul_f16_e32 v147, 0xb964, v119
	v_fma_f16 v148, v117, s7, -v147
	v_mul_f16_e32 v149, 0xbbf7, v124
	v_add_f16_e32 v148, v24, v148
	v_fma_f16 v150, v123, s11, -v149
	v_add_f16_e32 v148, v150, v148
	v_mul_f16_e32 v150, 0xba62, v127
	v_fma_f16 v151, v126, s13, -v150
	v_add_f16_e32 v148, v151, v148
	v_mul_f16_e32 v151, 0xb1e1, v130
	;; [unrolled: 3-line block ×3, first 2 shown]
	v_fma_f16 v147, v117, s7, v147
	v_fma_f16 v154, v141, s14, -v153
	v_fma_f16 v153, v132, s14, -v152
	v_add_f16_e32 v147, v24, v147
	v_fma_f16 v149, v123, s11, v149
	v_add_f16_e32 v100, v24, v65
	v_add_f16_e32 v148, v153, v148
	v_mul_f16_e32 v153, 0x3bb2, v136
	v_add_f16_e32 v147, v149, v147
	v_fma_f16 v149, v126, s13, v150
	v_add_f16_e32 v100, v100, v54
	v_add_f16_e32 v146, v154, v146
	v_fma_f16 v154, v135, s12, -v153
	v_add_f16_e32 v147, v149, v147
	v_fma_f16 v149, v129, s15, v151
	v_add_f16_e32 v100, v100, v47
	v_add_f16_e32 v148, v154, v148
	v_mul_f16_e32 v154, 0x3b29, v139
	v_add_f16_e32 v147, v149, v147
	v_fma_f16 v149, v132, s14, v152
	v_add_f16_e32 v100, v100, v43
	v_fma_f16 v155, v138, s10, -v154
	v_add_f16_e32 v147, v149, v147
	v_fma_f16 v149, v135, s12, v153
	v_add_f16_e32 v100, v100, v37
	v_add_f16_e32 v148, v155, v148
	v_mul_f16_e32 v155, 0x35c8, v142
	v_add_f16_e32 v147, v149, v147
	v_fma_f16 v149, v138, s10, v154
	v_add_f16_e32 v100, v100, v31
	v_add_f16_e32 v147, v149, v147
	v_fma_f16 v149, v141, s6, v155
	v_mul_f16_e32 v119, 0xb5c8, v119
	v_add_f16_e32 v100, v100, v4
	v_add_f16_e32 v147, v149, v147
	v_fma_f16 v149, v117, s6, -v119
	v_mul_f16_e32 v124, 0xb964, v124
	v_fma_f16 v117, v117, s6, v119
	v_add_f16_e32 v100, v100, v0
	v_add_f16_e32 v149, v24, v149
	v_mul_f16_e32 v127, 0xbb29, v127
	v_add_f16_e32 v24, v24, v117
	v_fma_f16 v117, v123, s7, v124
	v_add_f16_e32 v100, v100, v2
	v_mul_f16_e32 v130, 0xbbf7, v130
	v_add_f16_e32 v24, v117, v24
	v_fma_f16 v117, v126, s10, v127
	v_add_f16_e32 v100, v100, v6
	v_fma_f16 v150, v123, s7, -v124
	v_mul_f16_e32 v133, 0xbbb2, v133
	v_add_f16_e32 v24, v117, v24
	v_fma_f16 v117, v129, s11, v130
	v_add_f16_e32 v100, v100, v35
	v_add_f16_e32 v149, v150, v149
	v_fma_f16 v150, v126, s10, -v127
	v_mul_f16_e32 v136, 0xba62, v136
	v_add_f16_e32 v24, v117, v24
	v_fma_f16 v117, v132, s12, v133
	v_add_f16_e32 v100, v100, v41
	;; [unrolled: 6-line block ×4, first 2 shown]
	v_add_f16_e32 v149, v150, v149
	v_fma_f16 v150, v135, s13, -v136
	v_add_f16_e32 v24, v117, v24
	v_fma_f16 v117, v141, s15, v142
	v_add_f16_e32 v100, v100, v66
	v_add_f16_e32 v149, v150, v149
	v_fma_f16 v150, v138, s14, -v139
	v_add_f16_e32 v24, v117, v24
	v_lshlrev_b32_sdwa v117, v121, v23 dst_sel:DWORD dst_unused:UNUSED_PAD src0_sel:DWORD src1_sel:BYTE_0
	v_add_f16_e32 v100, v100, v80
	v_fma_f16 v156, v141, s6, -v155
	v_add_f16_e32 v149, v150, v149
	v_fma_f16 v150, v141, s15, -v142
	v_add3_u32 v117, 0, v117, v21
	v_add_f16_e32 v148, v156, v148
	v_add_f16_e32 v149, v150, v149
	ds_write_b16 v117, v100 offset:952
	ds_write_b16 v117, v24 offset:966
	;; [unrolled: 1-line block ×17, first 2 shown]
.LBB0_18:
	s_or_b64 exec, exec, s[2:3]
	v_add_f16_e32 v24, v53, v96
	v_add_f16_e32 v24, v24, v92
	;; [unrolled: 1-line block ×17, first 2 shown]
	v_sub_f16_e32 v95, v95, v115
	v_mul_f16_e32 v96, 0x3b76, v24
	v_mul_f16_e32 v116, 0x39e9, v24
	;; [unrolled: 1-line block ×8, first 2 shown]
	v_fma_f16 v115, v95, s29, v96
	v_fma_f16 v96, v95, s26, v96
	;; [unrolled: 1-line block ×16, first 2 shown]
	v_add_f16_e32 v115, v53, v115
	v_add_f16_e32 v96, v53, v96
	;; [unrolled: 1-line block ×17, first 2 shown]
	v_sub_f16_e32 v90, v90, v111
	v_mul_f16_e32 v92, 0x39e9, v53
	v_fma_f16 v95, v90, s27, v92
	v_fma_f16 v92, v90, s23, v92
	v_add_f16_e32 v92, v92, v96
	v_mul_f16_e32 v96, 0x2de8, v53
	v_fma_f16 v111, v90, s19, v96
	v_fma_f16 v96, v90, s16, v96
	v_mul_f16_e32 v112, 0xb8d2, v53
	v_add_f16_e32 v95, v95, v115
	v_add_f16_e32 v96, v96, v116
	v_fma_f16 v115, v90, s25, v112
	v_fma_f16 v112, v90, s21, v112
	v_mul_f16_e32 v116, 0xbbdd, v53
	v_add_f16_e32 v111, v111, v117
	v_add_f16_e32 v112, v112, v119
	;; [unrolled: 5-line block ×4, first 2 shown]
	v_fma_f16 v122, v90, s17, v121
	v_fma_f16 v121, v90, s20, v121
	v_mul_f16_e32 v123, 0x3722, v53
	v_mul_f16_e32 v53, 0x3b76, v53
	v_add_f16_e32 v121, v121, v125
	v_fma_f16 v125, v90, s26, v53
	v_fma_f16 v53, v90, s29, v53
	v_add_f16_e32 v24, v53, v24
	v_add_f16_e32 v53, v86, v108
	v_sub_f16_e32 v85, v85, v107
	v_mul_f16_e32 v86, 0x3722, v53
	v_add_f16_e32 v120, v120, v124
	v_fma_f16 v124, v90, s18, v123
	v_fma_f16 v123, v90, s22, v123
	;; [unrolled: 1-line block ×4, first 2 shown]
	v_add_f16_e32 v86, v86, v92
	v_mul_f16_e32 v92, 0xb8d2, v53
	v_add_f16_e32 v90, v90, v95
	v_fma_f16 v95, v85, s25, v92
	v_fma_f16 v92, v85, s21, v92
	v_add_f16_e32 v92, v92, v96
	v_mul_f16_e32 v96, 0xbbdd, v53
	v_fma_f16 v107, v85, s30, v96
	v_fma_f16 v96, v85, s31, v96
	v_mul_f16_e32 v108, 0xb461, v53
	v_add_f16_e32 v95, v95, v111
	v_add_f16_e32 v96, v96, v112
	v_fma_f16 v111, v85, s17, v108
	v_fma_f16 v108, v85, s20, v108
	v_mul_f16_e32 v112, 0x39e9, v53
	v_add_f16_e32 v107, v107, v115
	v_add_f16_e32 v108, v108, v116
	;; [unrolled: 5-line block ×3, first 2 shown]
	v_fma_f16 v117, v85, s29, v116
	v_fma_f16 v116, v85, s26, v116
	v_mul_f16_e32 v119, 0x2de8, v53
	v_mul_f16_e32 v53, 0xbacd, v53
	v_add_f16_e32 v116, v116, v121
	v_fma_f16 v121, v85, s28, v53
	v_fma_f16 v53, v85, s24, v53
	v_add_f16_e32 v24, v53, v24
	v_add_f16_e32 v53, v76, v104
	v_sub_f16_e32 v75, v75, v103
	v_mul_f16_e32 v76, 0x2de8, v53
	v_add_f16_e32 v115, v115, v120
	v_fma_f16 v120, v85, s19, v119
	v_fma_f16 v119, v85, s16, v119
	;; [unrolled: 1-line block ×4, first 2 shown]
	v_add_f16_e32 v76, v76, v86
	v_mul_f16_e32 v86, 0xbbdd, v53
	v_add_f16_e32 v85, v85, v90
	v_fma_f16 v90, v75, s31, v86
	v_fma_f16 v86, v75, s30, v86
	v_add_f16_e32 v86, v86, v92
	v_mul_f16_e32 v92, 0xb461, v53
	v_add_f16_e32 v90, v90, v95
	v_fma_f16 v95, v75, s17, v92
	v_fma_f16 v92, v75, s20, v92
	v_add_f16_e32 v92, v92, v96
	v_mul_f16_e32 v96, 0x3b76, v53
	v_fma_f16 v103, v75, s26, v96
	v_fma_f16 v96, v75, s29, v96
	v_mul_f16_e32 v104, 0x3722, v53
	v_add_f16_e32 v95, v95, v107
	v_add_f16_e32 v96, v96, v108
	v_fma_f16 v107, v75, s22, v104
	v_fma_f16 v104, v75, s18, v104
	v_mul_f16_e32 v108, 0xbacd, v53
	v_add_f16_e32 v103, v103, v111
	v_add_f16_e32 v104, v104, v112
	v_fma_f16 v111, v75, s28, v108
	v_fma_f16 v108, v75, s24, v108
	v_mul_f16_e32 v112, 0xb8d2, v53
	v_mul_f16_e32 v53, 0x39e9, v53
	v_add_f16_e32 v108, v108, v116
	v_fma_f16 v116, v75, s23, v53
	v_fma_f16 v53, v75, s27, v53
	v_add_f16_e32 v24, v53, v24
	v_add_f16_e32 v53, v88, v99
	;; [unrolled: 1-line block ×3, first 2 shown]
	v_fma_f16 v115, v75, s21, v112
	v_fma_f16 v112, v75, s25, v112
	v_sub_f16_e32 v75, v87, v97
	v_mul_f16_e32 v87, 0xb461, v53
	v_fma_f16 v88, v75, s20, v87
	v_fma_f16 v87, v75, s17, v87
	v_add_f16_e32 v76, v87, v76
	v_mul_f16_e32 v87, 0xbacd, v53
	v_add_f16_e32 v85, v88, v85
	v_fma_f16 v88, v75, s24, v87
	v_fma_f16 v87, v75, s28, v87
	v_add_f16_e32 v86, v87, v86
	v_mul_f16_e32 v87, 0x39e9, v53
	v_add_f16_e32 v88, v88, v90
	;; [unrolled: 5-line block ×3, first 2 shown]
	v_fma_f16 v95, v75, s22, v92
	v_fma_f16 v92, v75, s18, v92
	v_add_f16_e32 v92, v92, v96
	v_mul_f16_e32 v96, 0xbbdd, v53
	v_fma_f16 v97, v75, s31, v96
	v_fma_f16 v96, v75, s30, v96
	v_mul_f16_e32 v99, 0x2de8, v53
	v_add_f16_e32 v95, v95, v103
	v_add_f16_e32 v96, v96, v104
	v_fma_f16 v103, v75, s16, v99
	v_fma_f16 v99, v75, s19, v99
	v_mul_f16_e32 v104, 0x3b76, v53
	v_mul_f16_e32 v53, 0xb8d2, v53
	v_add_f16_e32 v99, v99, v108
	v_fma_f16 v108, v75, s25, v53
	v_fma_f16 v53, v75, s21, v53
	v_add_f16_e32 v24, v53, v24
	v_add_f16_e32 v53, v78, v91
	;; [unrolled: 1-line block ×3, first 2 shown]
	v_fma_f16 v107, v75, s29, v104
	v_fma_f16 v104, v75, s26, v104
	v_sub_f16_e32 v75, v77, v89
	v_mul_f16_e32 v77, 0xb8d2, v53
	v_fma_f16 v78, v75, s25, v77
	v_fma_f16 v77, v75, s21, v77
	v_add_f16_e32 v76, v77, v76
	v_mul_f16_e32 v77, 0xb461, v53
	v_add_f16_e32 v78, v78, v85
	v_fma_f16 v85, v75, s17, v77
	v_fma_f16 v77, v75, s20, v77
	v_add_f16_e32 v77, v77, v86
	v_mul_f16_e32 v86, 0x3b76, v53
	v_add_f16_e32 v85, v85, v88
	;; [unrolled: 5-line block ×3, first 2 shown]
	v_fma_f16 v89, v75, s28, v87
	v_fma_f16 v87, v75, s24, v87
	v_mul_f16_e32 v90, 0x2de8, v53
	v_add_f16_e32 v87, v87, v92
	v_fma_f16 v91, v75, s16, v90
	v_fma_f16 v90, v75, s19, v90
	v_mul_f16_e32 v92, 0x39e9, v53
	v_add_f16_e32 v89, v89, v95
	v_add_f16_e32 v90, v90, v96
	v_fma_f16 v95, v75, s27, v92
	v_fma_f16 v92, v75, s23, v92
	v_mul_f16_e32 v96, 0xbbdd, v53
	v_mul_f16_e32 v53, 0x3722, v53
	v_add_f16_e32 v92, v92, v99
	v_fma_f16 v99, v75, s18, v53
	v_fma_f16 v53, v75, s22, v53
	v_add_f16_e32 v24, v53, v24
	v_add_f16_e32 v53, v72, v81
	v_sub_f16_e32 v70, v70, v79
	v_mul_f16_e32 v72, 0xbacd, v53
	v_add_f16_e32 v91, v91, v97
	v_fma_f16 v97, v75, s31, v96
	v_fma_f16 v96, v75, s30, v96
	;; [unrolled: 1-line block ×4, first 2 shown]
	v_add_f16_e32 v72, v72, v76
	v_mul_f16_e32 v76, 0x3722, v53
	v_add_f16_e32 v75, v75, v78
	v_fma_f16 v78, v70, s18, v76
	v_fma_f16 v76, v70, s22, v76
	v_add_f16_e32 v76, v76, v77
	v_mul_f16_e32 v77, 0x2de8, v53
	v_fma_f16 v79, v70, s19, v77
	v_fma_f16 v77, v70, s16, v77
	v_mul_f16_e32 v81, 0xb8d2, v53
	v_add_f16_e32 v78, v78, v85
	v_add_f16_e32 v77, v77, v86
	v_fma_f16 v85, v70, s21, v81
	v_fma_f16 v81, v70, s25, v81
	v_mul_f16_e32 v86, 0x3b76, v53
	v_add_f16_e32 v79, v79, v88
	v_add_f16_e32 v81, v81, v87
	;; [unrolled: 5-line block ×3, first 2 shown]
	v_add_f16_e32 v86, v86, v90
	v_fma_f16 v89, v70, s31, v88
	v_fma_f16 v88, v70, s30, v88
	v_mul_f16_e32 v90, 0x39e9, v53
	v_mul_f16_e32 v53, 0xb461, v53
	v_add_f16_e32 v122, v122, v126
	v_add_f16_e32 v119, v119, v123
	;; [unrolled: 1-line block ×3, first 2 shown]
	v_fma_f16 v92, v70, s20, v53
	v_fma_f16 v53, v70, s17, v53
	v_add_f16_e32 v125, v125, v129
	v_add_f16_e32 v117, v117, v122
	;; [unrolled: 1-line block ×9, first 2 shown]
	v_sub_f16_e32 v60, v60, v69
	v_mul_f16_e32 v62, 0xbbdd, v53
	v_add_f16_e32 v120, v120, v124
	v_add_f16_e32 v116, v116, v121
	;; [unrolled: 1-line block ×5, first 2 shown]
	v_fma_f16 v91, v70, s23, v90
	v_fma_f16 v90, v70, s27, v90
	;; [unrolled: 1-line block ×4, first 2 shown]
	v_add_f16_e32 v115, v115, v120
	v_add_f16_e32 v108, v108, v116
	;; [unrolled: 1-line block ×5, first 2 shown]
	v_mul_f16_e32 v62, 0x3b76, v53
	v_add_f16_e32 v107, v107, v115
	v_add_f16_e32 v99, v99, v108
	;; [unrolled: 1-line block ×4, first 2 shown]
	v_fma_f16 v69, v60, s26, v62
	v_fma_f16 v62, v60, s29, v62
	v_add_f16_e32 v97, v97, v107
	v_add_f16_e32 v92, v92, v99
	;; [unrolled: 1-line block ×3, first 2 shown]
	v_mul_f16_e32 v62, 0xbacd, v53
	v_add_f16_e32 v91, v91, v97
	v_add_f16_e32 v97, v69, v78
	v_fma_f16 v69, v60, s28, v62
	v_fma_f16 v62, v60, s24, v62
	v_add_f16_e32 v104, v62, v77
	v_mul_f16_e32 v62, 0x39e9, v53
	v_add_f16_e32 v103, v69, v79
	v_fma_f16 v69, v60, s23, v62
	v_fma_f16 v62, v60, s27, v62
	v_add_f16_e32 v108, v62, v81
	v_mul_f16_e32 v62, 0xb8d2, v53
	;; [unrolled: 5-line block ×4, first 2 shown]
	v_add_f16_e32 v89, v69, v89
	v_fma_f16 v69, v60, s20, v62
	v_fma_f16 v62, v60, s17, v62
	v_mul_f16_e32 v53, 0x2de8, v53
	v_add_f16_e32 v90, v62, v90
	v_fma_f16 v62, v60, s16, v53
	v_fma_f16 v53, v60, s19, v53
	v_add_f16_e32 v111, v53, v24
	v_add_f16_e32 v24, v25, v64
	;; [unrolled: 1-line block ×19, first 2 shown]
	v_sub_f16_e32 v53, v63, v113
	v_mul_f16_e32 v60, 0x3b76, v24
	v_mul_f16_e32 v63, 0x39e9, v24
	;; [unrolled: 1-line block ×8, first 2 shown]
	v_add_f16_e32 v92, v62, v92
	v_fma_f16 v62, v53, s29, v60
	v_fma_f16 v60, v53, s26, v60
	;; [unrolled: 1-line block ×16, first 2 shown]
	v_add_f16_e32 v62, v25, v62
	v_add_f16_e32 v60, v25, v60
	;; [unrolled: 1-line block ×17, first 2 shown]
	v_sub_f16_e32 v53, v56, v109
	v_mul_f16_e32 v56, 0x39e9, v25
	v_fma_f16 v58, v53, s27, v56
	v_fma_f16 v56, v53, s23, v56
	v_add_f16_e32 v56, v56, v60
	v_mul_f16_e32 v60, 0x2de8, v25
	v_add_f16_e32 v58, v58, v62
	v_fma_f16 v62, v53, s19, v60
	v_fma_f16 v60, v53, s16, v60
	v_add_f16_e32 v60, v60, v63
	v_mul_f16_e32 v63, 0xb8d2, v25
	v_add_f16_e32 v62, v62, v64
	v_fma_f16 v64, v53, s25, v63
	v_fma_f16 v63, v53, s21, v63
	v_add_f16_e32 v63, v63, v69
	v_mul_f16_e32 v69, 0xbbdd, v25
	v_add_f16_e32 v64, v64, v70
	v_fma_f16 v70, v53, s31, v69
	v_fma_f16 v69, v53, s30, v69
	v_add_f16_e32 v69, v69, v71
	v_mul_f16_e32 v71, 0xbacd, v25
	v_add_f16_e32 v70, v70, v72
	v_fma_f16 v72, v53, s24, v71
	v_fma_f16 v71, v53, s28, v71
	v_add_f16_e32 v71, v71, v75
	v_mul_f16_e32 v75, 0xb461, v25
	v_add_f16_e32 v72, v72, v76
	v_fma_f16 v76, v53, s17, v75
	v_fma_f16 v75, v53, s20, v75
	v_add_f16_e32 v75, v75, v77
	v_mul_f16_e32 v77, 0x3722, v25
	v_add_f16_e32 v76, v76, v78
	v_fma_f16 v78, v53, s18, v77
	v_fma_f16 v77, v53, s22, v77
	v_mul_f16_e32 v25, 0x3b76, v25
	v_add_f16_e32 v77, v77, v79
	v_fma_f16 v79, v53, s26, v25
	v_fma_f16 v25, v53, s29, v25
	v_add_f16_e32 v24, v25, v24
	v_add_f16_e32 v25, v52, v106
	v_sub_f16_e32 v51, v51, v105
	v_mul_f16_e32 v52, 0x3722, v25
	v_fma_f16 v53, v51, s22, v52
	v_fma_f16 v52, v51, s18, v52
	v_add_f16_e32 v52, v52, v56
	v_mul_f16_e32 v56, 0xb8d2, v25
	v_add_f16_e32 v53, v53, v58
	v_fma_f16 v58, v51, s25, v56
	v_fma_f16 v56, v51, s21, v56
	v_add_f16_e32 v56, v56, v60
	v_mul_f16_e32 v60, 0xbbdd, v25
	v_add_f16_e32 v58, v58, v62
	v_fma_f16 v62, v51, s30, v60
	v_fma_f16 v60, v51, s31, v60
	v_add_f16_e32 v60, v60, v63
	v_mul_f16_e32 v63, 0xb461, v25
	v_add_f16_e32 v62, v62, v64
	v_fma_f16 v64, v51, s17, v63
	v_fma_f16 v63, v51, s20, v63
	v_add_f16_e32 v63, v63, v69
	v_mul_f16_e32 v69, 0x39e9, v25
	v_add_f16_e32 v64, v64, v70
	v_fma_f16 v70, v51, s23, v69
	v_fma_f16 v69, v51, s27, v69
	v_add_f16_e32 v69, v69, v71
	v_mul_f16_e32 v71, 0x3b76, v25
	v_add_f16_e32 v70, v70, v72
	v_fma_f16 v72, v51, s29, v71
	v_fma_f16 v71, v51, s26, v71
	v_add_f16_e32 v71, v71, v75
	v_mul_f16_e32 v75, 0x2de8, v25
	v_add_f16_e32 v72, v72, v76
	v_fma_f16 v76, v51, s19, v75
	v_fma_f16 v75, v51, s16, v75
	v_mul_f16_e32 v25, 0xbacd, v25
	v_add_f16_e32 v75, v75, v77
	v_fma_f16 v77, v51, s28, v25
	v_fma_f16 v25, v51, s24, v25
	v_add_f16_e32 v24, v25, v24
	v_add_f16_e32 v25, v46, v102
	;; [unrolled: 40-line block ×6, first 2 shown]
	v_sub_f16_e32 v26, v26, v28
	v_mul_f16_e32 v27, 0xbbdd, v25
	v_fma_f16 v28, v26, s31, v27
	v_fma_f16 v27, v26, s30, v27
	v_add_f16_e32 v94, v27, v30
	v_mul_f16_e32 v27, 0x3b76, v25
	v_add_f16_e32 v93, v28, v33
	v_fma_f16 v28, v26, s26, v27
	v_fma_f16 v27, v26, s29, v27
	v_add_f16_e32 v102, v27, v34
	v_mul_f16_e32 v27, 0xbacd, v25
	v_add_f16_e32 v101, v28, v39
	;; [unrolled: 5-line block ×5, first 2 shown]
	v_fma_f16 v28, v26, s18, v27
	v_fma_f16 v27, v26, s22, v27
	v_add_f16_e32 v78, v78, v81
	v_add_f16_e32 v79, v79, v85
	;; [unrolled: 1-line block ×3, first 2 shown]
	v_mul_f16_e32 v27, 0xb461, v25
	v_add_f16_e32 v76, v76, v78
	v_add_f16_e32 v77, v77, v79
	;; [unrolled: 1-line block ×3, first 2 shown]
	v_fma_f16 v28, v26, s20, v27
	v_fma_f16 v27, v26, s17, v27
	v_mul_f16_e32 v25, 0x2de8, v25
	v_add_f16_e32 v72, v72, v76
	v_add_f16_e32 v75, v75, v77
	v_add_f16_e32 v119, v27, v60
	v_fma_f16 v27, v26, s16, v25
	v_fma_f16 v25, v26, s19, v25
	v_add_f16_e32 v70, v70, v72
	v_add_f16_e32 v71, v71, v75
	;; [unrolled: 1-line block ×3, first 2 shown]
	v_lshlrev_b32_e32 v24, 1, v15
	v_add_f16_e32 v64, v64, v70
	v_add_f16_e32 v69, v69, v71
	v_add3_u32 v56, 0, v24, v21
	v_lshlrev_b32_e32 v24, 1, v17
	v_add_f16_e32 v62, v62, v64
	v_add_f16_e32 v63, v63, v69
	v_add3_u32 v64, 0, v24, v21
	v_lshlrev_b32_e32 v24, 1, v16
	v_add_f16_e32 v117, v28, v62
	v_add_f16_e32 v120, v27, v63
	s_waitcnt lgkmcnt(0)
	; wave barrier
	s_waitcnt lgkmcnt(0)
	v_add3_u32 v69, 0, v24, v21
	ds_read_u16 v39, v56
	ds_read_u16 v53, v64
	;; [unrolled: 1-line block ×3, first 2 shown]
	ds_read_u16 v30, v18 offset:272
	ds_read_u16 v45, v18 offset:306
	;; [unrolled: 1-line block ×4, first 2 shown]
	ds_read_u16 v24, v19
	ds_read_u16 v74, v18 offset:170
	ds_read_u16 v25, v18 offset:238
	;; [unrolled: 1-line block ×25, first 2 shown]
	ds_read_u16 v29, v20
	ds_read_u16 v85, v18 offset:1156
	s_waitcnt lgkmcnt(0)
	; wave barrier
	s_waitcnt lgkmcnt(0)
	ds_write_b16 v118, v100
	ds_write_b16 v118, v95 offset:14
	ds_write_b16 v118, v97 offset:28
	;; [unrolled: 1-line block ×16, first 2 shown]
	ds_write_b16 v98, v112
	ds_write_b16 v98, v93 offset:14
	ds_write_b16 v98, v101 offset:28
	;; [unrolled: 1-line block ×16, first 2 shown]
	s_and_saveexec_b64 s[2:3], s[0:1]
	s_cbranch_execz .LBB0_20
; %bb.19:
	v_add_f16_e32 v86, v22, v67
	v_add_f16_e32 v86, v86, v55
	;; [unrolled: 1-line block ×16, first 2 shown]
	v_sub_f16_e32 v65, v65, v80
	v_mul_f16_e32 v80, 0x3b76, v67
	s_movk_i32 s11, 0x35c8
	s_mov_b32 s13, 0xb5c8
	v_mul_f16_e32 v87, 0x39e9, v67
	s_movk_i32 s7, 0x3964
	s_mov_b32 s12, 0xb964
	v_mul_f16_e32 v89, 0x3722, v67
	s_movk_i32 s1, 0x3b29
	s_mov_b32 s10, 0xbb29
	v_mul_f16_e32 v91, 0x2de8, v67
	s_movk_i32 s0, 0x3bf7
	s_mov_b32 s6, 0xbbf7
	v_mul_f16_e32 v93, 0xb461, v67
	s_movk_i32 s14, 0x3bb2
	s_mov_b32 s15, 0xbbb2
	v_mul_f16_e32 v95, 0xb8d2, v67
	s_movk_i32 s16, 0x3a62
	s_mov_b32 s17, 0xba62
	v_mul_f16_e32 v97, 0xbacd, v67
	s_movk_i32 s18, 0x3836
	s_mov_b32 s19, 0xb836
	v_mul_f16_e32 v67, 0xbbdd, v67
	s_movk_i32 s20, 0x31e1
	s_mov_b32 s21, 0xb1e1
	v_add_f16_e32 v86, v86, v82
	v_fma_f16 v82, v65, s11, v80
	v_fma_f16 v80, v65, s13, v80
	;; [unrolled: 1-line block ×16, first 2 shown]
	v_add_f16_e32 v55, v55, v68
	v_add_f16_e32 v82, v22, v82
	;; [unrolled: 1-line block ×17, first 2 shown]
	v_sub_f16_e32 v54, v54, v66
	v_mul_f16_e32 v65, 0x39e9, v55
	v_fma_f16 v66, v54, s7, v65
	v_fma_f16 v65, v54, s12, v65
	v_mul_f16_e32 v67, 0x2de8, v55
	v_add_f16_e32 v65, v65, v80
	v_fma_f16 v68, v54, s0, v67
	v_fma_f16 v67, v54, s6, v67
	v_mul_f16_e32 v80, 0xb8d2, v55
	v_add_f16_e32 v66, v66, v82
	v_add_f16_e32 v67, v67, v87
	v_fma_f16 v82, v54, s16, v80
	v_fma_f16 v80, v54, s17, v80
	v_mul_f16_e32 v87, 0xbbdd, v55
	v_add_f16_e32 v68, v68, v88
	;; [unrolled: 5-line block ×4, first 2 shown]
	v_add_f16_e32 v89, v89, v93
	v_fma_f16 v92, v54, s15, v91
	v_fma_f16 v91, v54, s14, v91
	v_mul_f16_e32 v93, 0x3722, v55
	v_mul_f16_e32 v55, 0x3b76, v55
	v_add_f16_e32 v90, v90, v94
	v_add_f16_e32 v91, v91, v95
	v_fma_f16 v94, v54, s10, v93
	v_fma_f16 v93, v54, s1, v93
	;; [unrolled: 1-line block ×4, first 2 shown]
	v_add_f16_e32 v49, v49, v59
	v_add_f16_e32 v22, v54, v22
	v_sub_f16_e32 v47, v47, v57
	v_mul_f16_e32 v54, 0x3722, v49
	v_fma_f16 v55, v47, s1, v54
	v_fma_f16 v54, v47, s10, v54
	v_mul_f16_e32 v57, 0xb8d2, v49
	v_add_f16_e32 v54, v54, v65
	v_fma_f16 v59, v47, s16, v57
	v_fma_f16 v57, v47, s17, v57
	v_mul_f16_e32 v65, 0xbbdd, v49
	v_add_f16_e32 v55, v55, v66
	v_add_f16_e32 v57, v57, v67
	v_fma_f16 v66, v47, s21, v65
	v_fma_f16 v65, v47, s20, v65
	v_mul_f16_e32 v67, 0xb461, v49
	v_add_f16_e32 v59, v59, v68
	;; [unrolled: 5-line block ×4, first 2 shown]
	v_add_f16_e32 v80, v80, v89
	v_fma_f16 v88, v47, s11, v87
	v_fma_f16 v87, v47, s13, v87
	v_mul_f16_e32 v89, 0x2de8, v49
	v_mul_f16_e32 v49, 0xbacd, v49
	v_add_f16_e32 v82, v82, v90
	v_add_f16_e32 v87, v87, v91
	v_fma_f16 v90, v47, s0, v89
	v_fma_f16 v89, v47, s6, v89
	;; [unrolled: 1-line block ×4, first 2 shown]
	v_add_f16_e32 v44, v44, v50
	v_add_f16_e32 v22, v47, v22
	v_sub_f16_e32 v43, v43, v48
	v_mul_f16_e32 v47, 0x2de8, v44
	v_fma_f16 v48, v43, s0, v47
	v_fma_f16 v47, v43, s6, v47
	v_mul_f16_e32 v49, 0xbbdd, v44
	v_add_f16_e32 v47, v47, v54
	v_fma_f16 v50, v43, s20, v49
	v_fma_f16 v49, v43, s21, v49
	v_mul_f16_e32 v54, 0xb461, v44
	v_add_f16_e32 v48, v48, v55
	v_add_f16_e32 v49, v49, v57
	v_fma_f16 v55, v43, s15, v54
	v_fma_f16 v54, v43, s14, v54
	v_mul_f16_e32 v57, 0x3b76, v44
	v_add_f16_e32 v50, v50, v59
	v_add_f16_e32 v54, v54, v65
	v_fma_f16 v59, v43, s13, v57
	v_fma_f16 v57, v43, s11, v57
	v_mul_f16_e32 v65, 0x3722, v44
	v_add_f16_e32 v55, v55, v66
	v_add_f16_e32 v57, v57, v67
	v_fma_f16 v66, v43, s1, v65
	v_fma_f16 v65, v43, s10, v65
	v_mul_f16_e32 v67, 0xbacd, v44
	v_add_f16_e32 v59, v59, v68
	v_add_f16_e32 v65, v65, v80
	v_fma_f16 v68, v43, s18, v67
	v_fma_f16 v67, v43, s19, v67
	v_mul_f16_e32 v80, 0xb8d2, v44
	v_mul_f16_e32 v44, 0x39e9, v44
	v_add_f16_e32 v38, v38, v42
	v_add_f16_e32 v66, v66, v82
	v_add_f16_e32 v67, v67, v87
	v_fma_f16 v82, v43, s17, v80
	v_fma_f16 v80, v43, s16, v80
	v_fma_f16 v87, v43, s12, v44
	v_fma_f16 v43, v43, s7, v44
	v_sub_f16_e32 v37, v37, v41
	v_mul_f16_e32 v41, 0xb461, v38
	v_add_f16_e32 v22, v43, v22
	v_fma_f16 v42, v37, s14, v41
	v_fma_f16 v41, v37, s15, v41
	v_mul_f16_e32 v43, 0xbacd, v38
	v_add_f16_e32 v41, v41, v47
	v_fma_f16 v44, v37, s19, v43
	v_fma_f16 v43, v37, s18, v43
	v_mul_f16_e32 v47, 0x39e9, v38
	v_add_f16_e32 v42, v42, v48
	v_add_f16_e32 v43, v43, v49
	v_fma_f16 v48, v37, s12, v47
	v_fma_f16 v47, v37, s7, v47
	v_mul_f16_e32 v49, 0x3722, v38
	v_add_f16_e32 v44, v44, v50
	v_add_f16_e32 v47, v47, v54
	v_fma_f16 v50, v37, s1, v49
	v_fma_f16 v49, v37, s10, v49
	v_mul_f16_e32 v54, 0xbbdd, v38
	v_add_f16_e32 v48, v48, v55
	v_add_f16_e32 v49, v49, v57
	v_fma_f16 v55, v37, s20, v54
	v_fma_f16 v54, v37, s21, v54
	v_mul_f16_e32 v57, 0x2de8, v38
	v_add_f16_e32 v50, v50, v59
	v_add_f16_e32 v54, v54, v65
	v_fma_f16 v59, v37, s6, v57
	v_fma_f16 v57, v37, s0, v57
	v_mul_f16_e32 v65, 0x3b76, v38
	v_mul_f16_e32 v38, 0xb8d2, v38
	v_add_f16_e32 v32, v32, v36
	v_add_f16_e32 v55, v55, v66
	v_add_f16_e32 v57, v57, v67
	v_fma_f16 v66, v37, s11, v65
	v_fma_f16 v65, v37, s13, v65
	v_fma_f16 v67, v37, s16, v38
	v_fma_f16 v37, v37, s17, v38
	v_sub_f16_e32 v31, v31, v35
	v_mul_f16_e32 v35, 0xb8d2, v32
	v_add_f16_e32 v22, v37, v22
	;; [unrolled: 38-line block ×3, first 2 shown]
	v_fma_f16 v7, v4, s18, v6
	v_fma_f16 v6, v4, s19, v6
	v_mul_f16_e32 v31, 0x3722, v5
	v_add_f16_e32 v6, v6, v35
	v_fma_f16 v32, v4, s10, v31
	v_fma_f16 v31, v4, s1, v31
	v_mul_f16_e32 v35, 0x2de8, v5
	v_add_f16_e32 v7, v7, v36
	v_add_f16_e32 v31, v31, v37
	v_fma_f16 v36, v4, s0, v35
	v_fma_f16 v35, v4, s6, v35
	v_mul_f16_e32 v37, 0xb8d2, v5
	v_add_f16_e32 v32, v32, v38
	;; [unrolled: 5-line block ×4, first 2 shown]
	v_add_f16_e32 v38, v38, v44
	v_add_f16_e32 v41, v41, v47
	v_fma_f16 v44, v4, s20, v43
	v_fma_f16 v43, v4, s21, v43
	v_mul_f16_e32 v47, 0x39e9, v5
	v_mul_f16_e32 v5, 0xb461, v5
	v_sub_f16_e32 v0, v0, v2
	v_mul_f16_e32 v2, 0xbbdd, v1
	v_add_f16_e32 v42, v42, v48
	v_add_f16_e32 v43, v43, v49
	v_fma_f16 v48, v4, s12, v47
	v_fma_f16 v47, v4, s7, v47
	v_fma_f16 v49, v4, s14, v5
	v_fma_f16 v4, v4, s15, v5
	v_fma_f16 v3, v0, s20, v2
	v_fma_f16 v2, v0, s21, v2
	v_mul_f16_e32 v5, 0x3b76, v1
	v_add_f16_e32 v3, v3, v7
	v_add_f16_e32 v2, v2, v6
	v_fma_f16 v6, v0, s13, v5
	v_fma_f16 v5, v0, s11, v5
	v_mul_f16_e32 v7, 0xbacd, v1
	v_add_f16_e32 v4, v4, v22
	v_add_f16_e32 v5, v5, v31
	v_fma_f16 v22, v0, s18, v7
	v_fma_f16 v7, v0, s19, v7
	v_mul_f16_e32 v31, 0x39e9, v1
	v_add_f16_e32 v92, v92, v96
	v_add_f16_e32 v94, v94, v98
	v_add_f16_e32 v93, v93, v97
	v_add_f16_e32 v95, v95, v99
	v_add_f16_e32 v6, v6, v32
	v_add_f16_e32 v7, v7, v35
	v_fma_f16 v32, v0, s12, v31
	v_fma_f16 v31, v0, s7, v31
	v_mul_f16_e32 v35, 0xb8d2, v1
	v_add_f16_e32 v88, v88, v92
	v_add_f16_e32 v90, v90, v94
	v_add_f16_e32 v89, v89, v93
	v_add_f16_e32 v91, v91, v95
	v_add_f16_e32 v22, v22, v36
	v_add_f16_e32 v31, v31, v37
	v_fma_f16 v36, v0, s16, v35
	v_fma_f16 v35, v0, s17, v35
	v_mul_f16_e32 v37, 0x3722, v1
	v_add_f16_e32 v68, v68, v88
	v_add_f16_e32 v82, v82, v90
	v_add_f16_e32 v80, v80, v89
	v_add_f16_e32 v87, v87, v91
	v_add_f16_e32 v32, v32, v38
	v_add_f16_e32 v35, v35, v41
	v_fma_f16 v38, v0, s10, v37
	v_fma_f16 v37, v0, s1, v37
	v_mul_f16_e32 v41, 0xb461, v1
	v_mul_f16_e32 v1, 0x2de8, v1
	v_add_f16_e32 v59, v59, v68
	v_add_f16_e32 v66, v66, v82
	v_add_f16_e32 v65, v65, v80
	v_add_f16_e32 v67, v67, v87
	v_add_f16_e32 v36, v36, v42
	v_add_f16_e32 v37, v37, v43
	v_fma_f16 v42, v0, s14, v41
	v_fma_f16 v41, v0, s15, v41
	;; [unrolled: 1-line block ×4, first 2 shown]
	v_mov_b32_e32 v1, 1
	v_add_f16_e32 v50, v50, v59
	v_add_f16_e32 v55, v55, v66
	;; [unrolled: 1-line block ×4, first 2 shown]
	v_lshlrev_b32_sdwa v1, v1, v23 dst_sel:DWORD dst_unused:UNUSED_PAD src0_sel:DWORD src1_sel:BYTE_0
	v_add_f16_e32 v44, v44, v50
	v_add_f16_e32 v48, v48, v55
	;; [unrolled: 1-line block ×4, first 2 shown]
	v_add3_u32 v1, 0, v1, v21
	v_add_f16_e32 v38, v38, v44
	v_add_f16_e32 v42, v42, v48
	;; [unrolled: 1-line block ×5, first 2 shown]
	ds_write_b16 v1, v86 offset:952
	ds_write_b16 v1, v3 offset:966
	;; [unrolled: 1-line block ×17, first 2 shown]
.LBB0_20:
	s_or_b64 exec, exec, s[2:3]
	s_waitcnt lgkmcnt(0)
	; wave barrier
	s_waitcnt lgkmcnt(0)
	s_and_saveexec_b64 s[0:1], vcc
	s_cbranch_execz .LBB0_22
; %bb.21:
	v_add_u32_e32 v6, 0x66, v10
	v_lshlrev_b32_e32 v4, 2, v6
	v_mov_b32_e32 v5, 0
	v_lshl_add_u64 v[0:1], v[4:5], 2, s[4:5]
	global_load_dwordx4 v[0:3], v[0:1], off offset:448
	v_add_u32_e32 v7, 0x55, v10
	v_lshlrev_b32_e32 v4, 2, v7
	v_lshl_add_u64 v[36:37], v[4:5], 2, s[4:5]
	ds_read_u16 v22, v18 offset:680
	ds_read_u16 v21, v18 offset:204
	;; [unrolled: 1-line block ×10, first 2 shown]
	ds_read_u16 v91, v20
	ds_read_u16 v47, v18 offset:374
	ds_read_u16 v92, v18 offset:340
	;; [unrolled: 1-line block ×5, first 2 shown]
	global_load_dwordx4 v[86:89], v[36:37], off offset:448
	ds_read_u16 v4, v18 offset:918
	ds_read_u16 v38, v18 offset:884
	;; [unrolled: 1-line block ×8, first 2 shown]
	ds_read_u16 v69, v69
	ds_read_u16 v43, v18 offset:1122
	s_movk_i32 s3, 0x3b9c
	s_mov_b32 s1, 0xb8b4
	s_movk_i32 s2, 0x34f2
	s_movk_i32 s6, 0x38b4
	s_mov_b32 s0, 0xbb9c
	ds_read_u16 v56, v56
	s_waitcnt vmcnt(1)
	v_mul_f16_sdwa v20, v81, v0 dst_sel:DWORD dst_unused:UNUSED_PAD src0_sel:DWORD src1_sel:WORD_1
	v_mul_f16_sdwa v31, v84, v1 dst_sel:DWORD dst_unused:UNUSED_PAD src0_sel:DWORD src1_sel:WORD_1
	;; [unrolled: 1-line block ×3, first 2 shown]
	s_waitcnt lgkmcnt(14)
	v_mul_f16_sdwa v42, v23, v0 dst_sel:DWORD dst_unused:UNUSED_PAD src0_sel:DWORD src1_sel:WORD_1
	v_mul_f16_sdwa v49, v22, v1 dst_sel:DWORD dst_unused:UNUSED_PAD src0_sel:DWORD src1_sel:WORD_1
	v_fma_f16 v20, v23, v0, -v20
	v_fma_f16 v22, v22, v1, -v31
	s_waitcnt lgkmcnt(3)
	v_fma_f16 v23, v36, v3, -v37
	v_mul_f16_sdwa v41, v83, v2 dst_sel:DWORD dst_unused:UNUSED_PAD src0_sel:DWORD src1_sel:WORD_1
	v_fma_f16 v31, v81, v0, v42
	v_sub_f16_e32 v0, v20, v22
	v_sub_f16_e32 v65, v20, v23
	;; [unrolled: 1-line block ×3, first 2 shown]
	v_add_f16_e32 v80, v20, v23
	v_add_f16_e32 v20, v20, v21
	v_mul_f16_sdwa v55, v4, v2 dst_sel:DWORD dst_unused:UNUSED_PAD src0_sel:DWORD src1_sel:WORD_1
	v_fma_f16 v4, v4, v2, -v41
	v_add_f16_e32 v20, v22, v20
	v_fma_f16 v37, v84, v1, v49
	v_fma_f16 v41, v83, v2, v55
	v_sub_f16_e32 v1, v23, v4
	v_add_f16_e32 v2, v22, v4
	v_sub_f16_e32 v66, v22, v4
	v_sub_f16_e32 v68, v4, v23
	v_add_f16_e32 v4, v4, v20
	v_add_f16_e32 v22, v23, v4
	;; [unrolled: 1-line block ×3, first 2 shown]
	v_mul_f16_sdwa v48, v36, v3 dst_sel:DWORD dst_unused:UNUSED_PAD src0_sel:DWORD src1_sel:WORD_1
	v_add_f16_e32 v4, v4, v37
	v_fma_f16 v36, v85, v3, v48
	v_sub_f16_e32 v48, v37, v41
	v_add_f16_e32 v67, v67, v68
	v_fma_f16 v68, v80, -0.5, v21
	v_add_f16_e32 v4, v4, v41
	v_sub_f16_e32 v42, v31, v36
	v_sub_f16_e32 v3, v31, v37
	;; [unrolled: 1-line block ×3, first 2 shown]
	v_add_f16_e32 v83, v31, v36
	v_add_f16_e32 v31, v36, v4
	v_fma_f16 v4, v48, s3, v68
	v_fma_f16 v85, v2, -0.5, v21
	v_fma_f16 v4, v42, s1, v4
	v_sub_f16_e32 v82, v41, v36
	v_fma_f16 v20, v67, s2, v4
	v_fma_f16 v4, v42, s3, v85
	v_add_f16_e32 v84, v0, v1
	v_add_f16_e32 v80, v81, v82
	v_fma_f16 v81, v83, -0.5, v79
	v_fma_f16 v4, v48, s6, v4
	v_add_f16_e32 v55, v37, v41
	v_fma_f16 v23, v84, s2, v4
	v_fma_f16 v4, v66, s0, v81
	v_fma_f16 v55, v55, -0.5, v79
	v_fma_f16 v4, v65, s6, v4
	v_sub_f16_e32 v49, v36, v41
	v_fma_f16 v21, v80, s2, v4
	v_fma_f16 v4, v65, s0, v55
	v_add_f16_e32 v49, v3, v49
	v_fma_f16 v3, v66, s3, v81
	v_fma_f16 v41, v66, s1, v4
	v_lshlrev_b32_e32 v4, 2, v16
	v_fma_f16 v3, v65, s1, v3
	v_lshl_add_u64 v[36:37], v[4:5], 2, s[4:5]
	v_fma_f16 v3, v80, s2, v3
	global_load_dwordx4 v[80:83], v[36:37], off offset:448
	v_fma_f16 v0, v42, s0, v85
	v_fma_f16 v1, v65, s3, v55
	;; [unrolled: 1-line block ×4, first 2 shown]
	s_waitcnt vmcnt(1)
	v_mul_f16_sdwa v36, v75, v87 dst_sel:DWORD dst_unused:UNUSED_PAD src0_sel:DWORD src1_sel:WORD_1
	ds_read_u16 v55, v18 offset:1088
	ds_read_u16 v48, v18 offset:170
	v_fma_f16 v2, v42, s6, v2
	v_fma_f16 v16, v49, s2, v41
	v_mul_f16_sdwa v4, v76, v86 dst_sel:DWORD dst_unused:UNUSED_PAD src0_sel:DWORD src1_sel:WORD_1
	v_fma_f16 v37, v32, v87, -v36
	v_mul_f16_sdwa v41, v77, v89 dst_sel:DWORD dst_unused:UNUSED_PAD src0_sel:DWORD src1_sel:WORD_1
	v_mul_f16_sdwa v42, v78, v88 dst_sel:DWORD dst_unused:UNUSED_PAD src0_sel:DWORD src1_sel:WORD_1
	ds_read_u16 v79, v19
	v_mul_f16_sdwa v19, v35, v86 dst_sel:DWORD dst_unused:UNUSED_PAD src0_sel:DWORD src1_sel:WORD_1
	v_mul_f16_sdwa v32, v32, v87 dst_sel:DWORD dst_unused:UNUSED_PAD src0_sel:DWORD src1_sel:WORD_1
	v_fma_f16 v1, v66, s6, v1
	v_fma_f16 v4, v35, v86, -v4
	s_waitcnt lgkmcnt(4)
	v_fma_f16 v41, v43, v89, -v41
	v_fma_f16 v42, v38, v88, -v42
	v_fma_f16 v66, v76, v86, v19
	v_mul_f16_sdwa v19, v43, v89 dst_sel:DWORD dst_unused:UNUSED_PAD src0_sel:DWORD src1_sel:WORD_1
	v_fma_f16 v68, v75, v87, v32
	v_mul_f16_sdwa v32, v38, v88 dst_sel:DWORD dst_unused:UNUSED_PAD src0_sel:DWORD src1_sel:WORD_1
	v_fma_f16 v1, v49, s2, v1
	v_sub_f16_e32 v36, v4, v37
	v_sub_f16_e32 v49, v41, v42
	v_fma_f16 v43, v77, v89, v19
	v_fma_f16 v38, v78, v88, v32
	v_add_f16_e32 v49, v36, v49
	v_add_f16_e32 v36, v37, v42
	v_sub_f16_e32 v32, v66, v68
	v_sub_f16_e32 v35, v43, v38
	s_waitcnt lgkmcnt(1)
	v_fma_f16 v65, v36, -0.5, v48
	v_add_f16_e32 v78, v32, v35
	v_sub_f16_e32 v35, v37, v4
	v_sub_f16_e32 v36, v42, v41
	;; [unrolled: 1-line block ×3, first 2 shown]
	v_add_f16_e32 v85, v35, v36
	v_add_f16_e32 v35, v4, v41
	;; [unrolled: 1-line block ×8, first 2 shown]
	v_sub_f16_e32 v75, v68, v38
	v_fma_f16 v86, v35, -0.5, v48
	v_sub_f16_e32 v36, v68, v66
	v_sub_f16_e32 v87, v38, v43
	v_add_f16_e32 v4, v4, v38
	v_fma_f16 v2, v67, s2, v2
	v_sub_f16_e32 v67, v66, v43
	v_add_f16_e32 v87, v36, v87
	v_add_f16_e32 v36, v66, v43
	v_add_f16_e32 v43, v43, v4
	v_fma_f16 v4, v75, s0, v86
	v_fma_f16 v4, v67, s6, v4
	;; [unrolled: 1-line block ×3, first 2 shown]
	v_sub_f16_e32 v84, v37, v42
	v_fma_f16 v37, v85, s2, v4
	v_fma_f16 v4, v67, s3, v65
	v_fma_f16 v88, v36, -0.5, v74
	v_fma_f16 v4, v75, s6, v4
	v_add_f16_e32 v32, v68, v38
	v_fma_f16 v42, v49, s2, v4
	v_fma_f16 v4, v84, s3, v88
	v_fma_f16 v76, v32, -0.5, v74
	v_fma_f16 v4, v77, s1, v4
	v_fma_f16 v19, v67, s0, v65
	;; [unrolled: 1-line block ×6, first 2 shown]
	v_lshlrev_b32_e32 v4, 2, v17
	v_fma_f16 v19, v49, s2, v19
	v_fma_f16 v36, v84, s0, v88
	v_lshl_add_u64 v[48:49], v[4:5], 2, s[4:5]
	v_fma_f16 v32, v77, s3, v76
	v_fma_f16 v35, v75, s3, v86
	;; [unrolled: 1-line block ×3, first 2 shown]
	global_load_dwordx4 v[74:77], v[48:49], off offset:448
	s_waitcnt vmcnt(1)
	v_mul_f16_sdwa v49, v72, v83 dst_sel:DWORD dst_unused:UNUSED_PAD src0_sel:DWORD src1_sel:WORD_1
	v_fma_f16 v35, v67, s1, v35
	v_mul_f16_sdwa v4, v70, v80 dst_sel:DWORD dst_unused:UNUSED_PAD src0_sel:DWORD src1_sel:WORD_1
	v_mul_f16_sdwa v48, v71, v81 dst_sel:DWORD dst_unused:UNUSED_PAD src0_sel:DWORD src1_sel:WORD_1
	v_fma_f16 v67, v55, v83, -v49
	v_mul_f16_sdwa v49, v73, v82 dst_sel:DWORD dst_unused:UNUSED_PAD src0_sel:DWORD src1_sel:WORD_1
	v_fma_f16 v4, v47, v80, -v4
	v_fma_f16 v66, v44, v81, -v48
	;; [unrolled: 1-line block ×3, first 2 shown]
	v_mul_f16_sdwa v47, v47, v80 dst_sel:DWORD dst_unused:UNUSED_PAD src0_sel:DWORD src1_sel:WORD_1
	v_sub_f16_e32 v48, v4, v66
	v_sub_f16_e32 v49, v67, v68
	v_fma_f16 v70, v70, v80, v47
	v_mul_f16_sdwa v47, v55, v83 dst_sel:DWORD dst_unused:UNUSED_PAD src0_sel:DWORD src1_sel:WORD_1
	v_mul_f16_sdwa v44, v44, v81 dst_sel:DWORD dst_unused:UNUSED_PAD src0_sel:DWORD src1_sel:WORD_1
	v_fma_f16 v32, v84, s6, v32
	v_fma_f16 v17, v78, s2, v65
	v_add_f16_e32 v65, v48, v49
	v_add_f16_e32 v48, v66, v68
	v_fma_f16 v72, v72, v83, v47
	v_fma_f16 v71, v71, v81, v44
	v_mul_f16_sdwa v44, v50, v82 dst_sel:DWORD dst_unused:UNUSED_PAD src0_sel:DWORD src1_sel:WORD_1
	v_fma_f16 v32, v78, s2, v32
	ds_read_u16 v78, v18 offset:1054
	ds_read_u16 v84, v64
	v_fma_f16 v64, v48, -0.5, v69
	v_sub_f16_e32 v80, v70, v72
	v_fma_f16 v73, v73, v82, v44
	v_fma_f16 v47, v80, s0, v64
	v_sub_f16_e32 v81, v71, v73
	v_fma_f16 v44, v81, s1, v47
	v_sub_f16_e32 v47, v70, v71
	v_sub_f16_e32 v48, v72, v73
	v_add_f16_e32 v82, v47, v48
	v_sub_f16_e32 v48, v66, v4
	v_sub_f16_e32 v49, v68, v67
	v_fma_f16 v35, v85, s2, v35
	v_sub_f16_e32 v85, v4, v67
	v_add_f16_e32 v50, v48, v49
	v_add_f16_e32 v48, v4, v67
	;; [unrolled: 1-line block ×3, first 2 shown]
	v_fma_f16 v55, v48, -0.5, v69
	v_add_f16_e32 v4, v66, v4
	v_fma_f16 v36, v87, s2, v36
	v_fma_f16 v48, v81, s3, v55
	v_sub_f16_e32 v49, v71, v70
	v_sub_f16_e32 v87, v73, v72
	v_fma_f16 v55, v81, s0, v55
	v_add_f16_e32 v4, v68, v4
	v_add_f16_e32 v47, v71, v73
	v_fma_f16 v48, v80, s1, v48
	v_add_f16_e32 v87, v49, v87
	v_add_f16_e32 v49, v70, v72
	v_fma_f16 v55, v80, s6, v55
	v_fma_f16 v64, v80, s3, v64
	v_add_f16_e32 v80, v67, v4
	v_add_f16_e32 v4, v63, v70
	v_fma_f16 v83, v47, -0.5, v63
	v_fma_f16 v88, v49, -0.5, v63
	v_add_f16_e32 v63, v4, v71
	v_lshlrev_b32_e32 v4, 2, v15
	v_sub_f16_e32 v86, v66, v68
	v_lshl_add_u64 v[66:67], v[4:5], 2, s[4:5]
	global_load_dwordx4 v[66:69], v[66:67], off offset:448
	v_fma_f16 v64, v81, s6, v64
	v_fma_f16 v44, v65, s2, v44
	;; [unrolled: 1-line block ×5, first 2 shown]
	v_add_f16_e32 v4, v63, v73
	v_fma_f16 v47, v86, s6, v47
	v_fma_f16 v65, v86, s1, v65
	v_add_f16_e32 v70, v72, v4
	v_fma_f16 v47, v82, s2, v47
	v_fma_f16 v65, v82, s2, v65
	ds_read_u16 v72, v18 offset:1020
	v_fma_f16 v48, v50, s2, v48
	v_fma_f16 v49, v86, s0, v88
	;; [unrolled: 1-line block ×3, first 2 shown]
	s_waitcnt vmcnt(1)
	v_mul_f16_sdwa v4, v58, v74 dst_sel:DWORD dst_unused:UNUSED_PAD src0_sel:DWORD src1_sel:WORD_1
	v_mul_f16_sdwa v15, v60, v75 dst_sel:DWORD dst_unused:UNUSED_PAD src0_sel:DWORD src1_sel:WORD_1
	;; [unrolled: 1-line block ×4, first 2 shown]
	v_fma_f16 v4, v92, v74, -v4
	v_fma_f16 v15, v54, v75, -v15
	s_waitcnt lgkmcnt(2)
	v_fma_f16 v71, v78, v77, -v71
	v_fma_f16 v73, v96, v76, -v73
	v_mul_f16_sdwa v82, v92, v74 dst_sel:DWORD dst_unused:UNUSED_PAD src0_sel:DWORD src1_sel:WORD_1
	v_sub_f16_e32 v63, v4, v15
	v_sub_f16_e32 v81, v71, v73
	v_fma_f16 v58, v58, v74, v82
	v_mul_f16_sdwa v74, v78, v77 dst_sel:DWORD dst_unused:UNUSED_PAD src0_sel:DWORD src1_sel:WORD_1
	v_mul_f16_sdwa v54, v54, v75 dst_sel:DWORD dst_unused:UNUSED_PAD src0_sel:DWORD src1_sel:WORD_1
	v_fma_f16 v55, v86, s3, v88
	v_add_f16_e32 v63, v63, v81
	v_add_f16_e32 v81, v15, v73
	v_fma_f16 v74, v61, v77, v74
	v_fma_f16 v54, v60, v75, v54
	v_mul_f16_sdwa v60, v96, v76 dst_sel:DWORD dst_unused:UNUSED_PAD src0_sel:DWORD src1_sel:WORD_1
	v_fma_f16 v49, v85, s6, v49
	v_fma_f16 v55, v85, s1, v55
	s_waitcnt lgkmcnt(1)
	v_fma_f16 v81, v81, -0.5, v84
	v_sub_f16_e32 v61, v58, v74
	v_fma_f16 v75, v62, v76, v60
	v_sub_f16_e32 v85, v15, v4
	v_sub_f16_e32 v86, v73, v71
	v_fma_f16 v77, v61, s0, v81
	v_sub_f16_e32 v60, v54, v75
	v_add_f16_e32 v85, v85, v86
	v_add_f16_e32 v86, v4, v71
	v_fma_f16 v62, v60, s1, v77
	v_sub_f16_e32 v78, v4, v71
	v_fma_f16 v86, v86, -0.5, v84
	v_add_f16_e32 v4, v4, v84
	v_fma_f16 v49, v87, s2, v49
	v_fma_f16 v55, v87, s2, v55
	v_fma_f16 v76, v63, s2, v62
	v_sub_f16_e32 v62, v58, v54
	v_sub_f16_e32 v77, v74, v75
	v_fma_f16 v87, v60, s3, v86
	v_sub_f16_e32 v88, v54, v58
	v_sub_f16_e32 v89, v75, v74
	v_fma_f16 v86, v60, s0, v86
	v_add_f16_e32 v4, v15, v4
	v_add_f16_e32 v62, v62, v77
	;; [unrolled: 1-line block ×3, first 2 shown]
	v_fma_f16 v87, v61, s1, v87
	v_add_f16_e32 v88, v88, v89
	v_add_f16_e32 v89, v58, v74
	v_fma_f16 v86, v61, s6, v86
	v_fma_f16 v61, v61, s3, v81
	v_add_f16_e32 v4, v73, v4
	v_fma_f16 v77, v77, -0.5, v53
	v_fma_f16 v89, v89, -0.5, v53
	v_fma_f16 v60, v60, s6, v61
	v_add_f16_e32 v71, v71, v4
	v_add_f16_e32 v53, v53, v58
	ds_read_u16 v58, v18 offset:986
	v_lshlrev_b32_e32 v4, 2, v14
	v_fma_f16 v82, v78, s3, v77
	v_sub_f16_e32 v83, v15, v73
	v_fma_f16 v81, v63, s2, v60
	v_fma_f16 v60, v78, s0, v77
	v_lshl_add_u64 v[14:15], v[4:5], 2, s[4:5]
	v_add_f16_e32 v4, v53, v54
	v_fma_f16 v82, v83, s6, v82
	v_fma_f16 v60, v83, s1, v60
	v_add_f16_e32 v4, v4, v75
	v_fma_f16 v82, v62, s2, v82
	v_fma_f16 v77, v62, s2, v60
	global_load_dwordx4 v[60:63], v[14:15], off offset:448
	v_add_f16_e32 v53, v74, v4
	s_waitcnt vmcnt(1)
	v_mul_f16_sdwa v4, v45, v66 dst_sel:DWORD dst_unused:UNUSED_PAD src0_sel:DWORD src1_sel:WORD_1
	v_mul_f16_sdwa v14, v46, v67 dst_sel:DWORD dst_unused:UNUSED_PAD src0_sel:DWORD src1_sel:WORD_1
	;; [unrolled: 1-line block ×4, first 2 shown]
	v_fma_f16 v4, v93, v66, -v4
	v_fma_f16 v14, v57, v67, -v14
	s_waitcnt lgkmcnt(1)
	v_fma_f16 v54, v72, v69, -v54
	v_fma_f16 v73, v97, v68, -v73
	v_mul_f16_sdwa v75, v93, v66 dst_sel:DWORD dst_unused:UNUSED_PAD src0_sel:DWORD src1_sel:WORD_1
	v_sub_f16_e32 v15, v4, v14
	v_sub_f16_e32 v74, v54, v73
	v_fma_f16 v45, v45, v66, v75
	v_mul_f16_sdwa v66, v72, v69 dst_sel:DWORD dst_unused:UNUSED_PAD src0_sel:DWORD src1_sel:WORD_1
	v_mul_f16_sdwa v57, v57, v67 dst_sel:DWORD dst_unused:UNUSED_PAD src0_sel:DWORD src1_sel:WORD_1
	v_add_f16_e32 v15, v15, v74
	v_add_f16_e32 v74, v14, v73
	v_fma_f16 v51, v51, v69, v66
	v_fma_f16 v46, v46, v67, v57
	v_mul_f16_sdwa v57, v97, v68 dst_sel:DWORD dst_unused:UNUSED_PAD src0_sel:DWORD src1_sel:WORD_1
	v_sub_f16_e32 v66, v45, v51
	v_fma_f16 v52, v52, v68, v57
	ds_read_u16 v18, v18 offset:952
	v_fma_f16 v74, v74, -0.5, v56
	v_fma_f16 v69, v66, s0, v74
	v_sub_f16_e32 v57, v46, v52
	v_fma_f16 v67, v57, s1, v69
	v_fma_f16 v72, v15, s2, v67
	v_sub_f16_e32 v67, v45, v46
	v_sub_f16_e32 v68, v51, v52
	v_add_f16_e32 v67, v67, v68
	v_add_f16_e32 v68, v46, v52
	v_fma_f16 v87, v85, s2, v87
	v_fma_f16 v92, v83, s0, v89
	;; [unrolled: 1-line block ×4, first 2 shown]
	v_fma_f16 v68, v68, -0.5, v39
	v_sub_f16_e32 v75, v4, v54
	v_fma_f16 v92, v78, s6, v92
	v_fma_f16 v86, v78, s1, v86
	;; [unrolled: 1-line block ×3, first 2 shown]
	v_sub_f16_e32 v78, v14, v73
	v_fma_f16 v69, v78, s6, v69
	v_fma_f16 v83, v67, s2, v69
	;; [unrolled: 1-line block ×8, first 2 shown]
	v_sub_f16_e32 v15, v14, v4
	v_sub_f16_e32 v67, v73, v54
	v_add_f16_e32 v15, v15, v67
	v_add_f16_e32 v67, v4, v54
	v_add_f16_e32 v4, v4, v56
	v_add_f16_e32 v4, v14, v4
	v_add_f16_e32 v4, v73, v4
	v_fma_f16 v67, v67, -0.5, v56
	v_add_f16_e32 v54, v54, v4
	v_sub_f16_e32 v4, v46, v45
	v_sub_f16_e32 v14, v52, v51
	v_fma_f16 v68, v57, s3, v67
	v_fma_f16 v57, v57, s0, v67
	v_add_f16_e32 v14, v4, v14
	v_add_f16_e32 v4, v45, v51
	v_fma_f16 v68, v66, s1, v68
	v_fma_f16 v57, v66, s6, v57
	v_fma_f16 v4, v4, -0.5, v39
	v_fma_f16 v92, v88, s2, v92
	v_fma_f16 v86, v88, s2, v86
	;; [unrolled: 1-line block ×8, first 2 shown]
	v_lshlrev_b32_e32 v4, 2, v10
	v_lshl_add_u64 v[4:5], v[4:5], 2, s[4:5]
	global_load_dwordx4 v[66:69], v[4:5], off offset:448
	v_fma_f16 v4, v75, s1, v15
	v_fma_f16 v73, v14, s2, v4
	v_add_f16_e32 v4, v39, v45
	v_add_f16_e32 v4, v4, v46
	;; [unrolled: 1-line block ×4, first 2 shown]
	s_waitcnt vmcnt(1)
	v_mul_f16_sdwa v4, v30, v60 dst_sel:DWORD dst_unused:UNUSED_PAD src0_sel:DWORD src1_sel:WORD_1
	v_mul_f16_sdwa v5, v33, v61 dst_sel:DWORD dst_unused:UNUSED_PAD src0_sel:DWORD src1_sel:WORD_1
	;; [unrolled: 1-line block ×4, first 2 shown]
	v_fma_f16 v4, v94, v60, -v4
	v_fma_f16 v5, v59, v61, -v5
	s_waitcnt lgkmcnt(1)
	v_fma_f16 v15, v58, v63, -v15
	v_fma_f16 v45, v98, v62, -v45
	v_mul_f16_sdwa v51, v94, v60 dst_sel:DWORD dst_unused:UNUSED_PAD src0_sel:DWORD src1_sel:WORD_1
	v_fma_f16 v30, v30, v60, v51
	v_mul_f16_sdwa v51, v58, v63 dst_sel:DWORD dst_unused:UNUSED_PAD src0_sel:DWORD src1_sel:WORD_1
	v_mul_f16_sdwa v58, v59, v61 dst_sel:DWORD dst_unused:UNUSED_PAD src0_sel:DWORD src1_sel:WORD_1
	v_sub_f16_e32 v75, v5, v4
	v_sub_f16_e32 v78, v45, v15
	;; [unrolled: 1-line block ×3, first 2 shown]
	v_fma_f16 v33, v33, v61, v58
	v_sub_f16_e32 v61, v4, v15
	v_add_f16_e32 v75, v75, v78
	v_add_f16_e32 v78, v4, v15
	v_add_f16_e32 v4, v4, v91
	v_add_f16_e32 v4, v5, v4
	v_sub_f16_e32 v46, v15, v45
	v_mul_f16_sdwa v58, v98, v62 dst_sel:DWORD dst_unused:UNUSED_PAD src0_sel:DWORD src1_sel:WORD_1
	v_add_f16_e32 v4, v45, v4
	v_add_f16_e32 v14, v14, v46
	;; [unrolled: 1-line block ×3, first 2 shown]
	v_fma_f16 v34, v34, v63, v51
	v_fma_f16 v40, v40, v62, v58
	v_sub_f16_e32 v63, v5, v45
	v_add_f16_e32 v45, v15, v4
	v_add_f16_e32 v4, v29, v30
	v_fma_f16 v46, v46, -0.5, v91
	v_sub_f16_e32 v51, v30, v34
	v_sub_f16_e32 v59, v30, v33
	;; [unrolled: 1-line block ×5, first 2 shown]
	v_add_f16_e32 v4, v4, v33
	v_fma_f16 v52, v51, s0, v46
	v_sub_f16_e32 v58, v33, v40
	v_add_f16_e32 v59, v59, v60
	v_add_f16_e32 v60, v33, v40
	v_add_f16_e32 v93, v93, v94
	v_add_f16_e32 v94, v30, v34
	v_fma_f16 v46, v51, s3, v46
	v_add_f16_e32 v4, v4, v40
	v_fma_f16 v52, v58, s1, v52
	v_fma_f16 v60, v60, -0.5, v29
	v_fma_f16 v94, v94, -0.5, v29
	v_fma_f16 v46, v58, s6, v46
	v_add_f16_e32 v29, v34, v4
	v_fma_f16 v52, v14, s2, v52
	v_fma_f16 v78, v78, -0.5, v91
	v_fma_f16 v46, v14, s2, v46
	v_fma_f16 v14, v61, s0, v60
	;; [unrolled: 1-line block ×19, first 2 shown]
	v_pack_b32_f16 v2, v3, v2
	s_waitcnt vmcnt(0)
	v_mul_f16_sdwa v4, v25, v66 dst_sel:DWORD dst_unused:UNUSED_PAD src0_sel:DWORD src1_sel:WORD_1
	v_mul_f16_sdwa v5, v27, v67 dst_sel:DWORD dst_unused:UNUSED_PAD src0_sel:DWORD src1_sel:WORD_1
	v_mul_f16_sdwa v15, v26, v69 dst_sel:DWORD dst_unused:UNUSED_PAD src0_sel:DWORD src1_sel:WORD_1
	v_mul_f16_sdwa v30, v28, v68 dst_sel:DWORD dst_unused:UNUSED_PAD src0_sel:DWORD src1_sel:WORD_1
	v_fma_f16 v4, v95, v66, -v4
	v_fma_f16 v5, v90, v67, -v5
	s_waitcnt lgkmcnt(0)
	v_fma_f16 v15, v18, v69, -v15
	v_fma_f16 v30, v99, v68, -v30
	v_mul_f16_sdwa v34, v95, v66 dst_sel:DWORD dst_unused:UNUSED_PAD src0_sel:DWORD src1_sel:WORD_1
	v_mul_f16_sdwa v40, v90, v67 dst_sel:DWORD dst_unused:UNUSED_PAD src0_sel:DWORD src1_sel:WORD_1
	v_fma_f16 v25, v25, v66, v34
	v_fma_f16 v27, v27, v67, v40
	v_mul_f16_sdwa v40, v99, v68 dst_sel:DWORD dst_unused:UNUSED_PAD src0_sel:DWORD src1_sel:WORD_1
	v_sub_f16_e32 v66, v5, v4
	v_sub_f16_e32 v67, v30, v15
	;; [unrolled: 1-line block ×4, first 2 shown]
	v_mul_f16_sdwa v18, v18, v69 dst_sel:DWORD dst_unused:UNUSED_PAD src0_sel:DWORD src1_sel:WORD_1
	v_fma_f16 v28, v28, v68, v40
	v_sub_f16_e32 v60, v4, v15
	v_add_f16_e32 v66, v66, v67
	v_add_f16_e32 v67, v4, v15
	;; [unrolled: 1-line block ×5, first 2 shown]
	v_fma_f16 v18, v26, v69, v18
	v_sub_f16_e32 v40, v27, v28
	v_fma_f16 v67, v67, -0.5, v79
	v_add_f16_e32 v4, v5, v4
	v_fma_f16 v33, v33, -0.5, v79
	v_sub_f16_e32 v26, v25, v18
	v_sub_f16_e32 v58, v25, v27
	;; [unrolled: 1-line block ×3, first 2 shown]
	v_fma_f16 v68, v40, s3, v67
	v_sub_f16_e32 v69, v27, v25
	v_sub_f16_e32 v90, v28, v18
	v_fma_f16 v67, v40, s0, v67
	v_add_f16_e32 v4, v30, v4
	v_fma_f16 v34, v26, s0, v33
	v_add_f16_e32 v58, v58, v59
	v_add_f16_e32 v59, v27, v28
	v_sub_f16_e32 v63, v5, v30
	v_fma_f16 v68, v26, s1, v68
	v_add_f16_e32 v69, v69, v90
	v_add_f16_e32 v90, v25, v18
	v_fma_f16 v67, v26, s6, v67
	v_fma_f16 v26, v26, s3, v33
	v_add_f16_e32 v30, v15, v4
	v_add_f16_e32 v4, v24, v25
	v_fma_f16 v34, v40, s1, v34
	v_fma_f16 v59, v59, -0.5, v24
	v_fma_f16 v90, v90, -0.5, v24
	v_fma_f16 v26, v40, s6, v26
	v_add_f16_e32 v4, v4, v27
	v_fma_f16 v34, v14, s2, v34
	v_fma_f16 v68, v66, s2, v68
	v_fma_f16 v66, v66, s2, v67
	v_fma_f16 v67, v63, s3, v90
	v_fma_f16 v26, v14, s2, v26
	v_fma_f16 v14, v60, s0, v59
	v_add_f16_e32 v4, v4, v28
	v_fma_f16 v91, v63, s0, v90
	v_fma_f16 v67, v60, s1, v67
	;; [unrolled: 1-line block ×3, first 2 shown]
	v_add_f16_e32 v18, v18, v4
	v_mad_u64_u32 v[4:5], s[0:1], s8, v10, 0
	v_fma_f16 v33, v58, s2, v14
	v_mov_b32_e32 v14, v5
	v_mad_u64_u32 v[14:15], s[0:1], s9, v10, v[14:15]
	v_mov_b32_e32 v5, v14
	v_lshl_add_u64 v[4:5], v[4:5], 2, v[8:9]
	v_pack_b32_f16 v14, v18, v30
	v_add_u32_e32 v15, 0x77, v10
	global_store_dword v[4:5], v14, off
	v_mad_u64_u32 v[4:5], s[0:1], s8, v15, 0
	v_mov_b32_e32 v14, v5
	v_mad_u64_u32 v[14:15], s[0:1], s9, v15, v[14:15]
	v_mov_b32_e32 v5, v14
	v_lshl_add_u64 v[4:5], v[4:5], 2, v[8:9]
	v_pack_b32_f16 v14, v33, v26
	v_add_u32_e32 v15, 0xee, v10
	global_store_dword v[4:5], v14, off
	v_mad_u64_u32 v[4:5], s[0:1], s8, v15, 0
	v_mov_b32_e32 v14, v5
	v_mad_u64_u32 v[14:15], s[0:1], s9, v15, v[14:15]
	v_fma_f16 v67, v69, s2, v67
	v_mov_b32_e32 v5, v14
	v_lshl_add_u64 v[4:5], v[4:5], 2, v[8:9]
	v_pack_b32_f16 v14, v67, v66
	v_add_u32_e32 v15, 0x165, v10
	global_store_dword v[4:5], v14, off
	v_mad_u64_u32 v[4:5], s[0:1], s8, v15, 0
	v_mov_b32_e32 v14, v5
	v_fma_f16 v91, v60, s6, v91
	v_mad_u64_u32 v[14:15], s[0:1], s9, v15, v[14:15]
	v_fma_f16 v61, v60, s3, v59
	v_fma_f16 v91, v69, s2, v91
	v_mov_b32_e32 v5, v14
	v_fma_f16 v61, v63, s6, v61
	v_lshl_add_u64 v[4:5], v[4:5], 2, v[8:9]
	v_pack_b32_f16 v14, v91, v68
	v_add_u32_e32 v15, 0x1dc, v10
	v_fma_f16 v61, v58, s2, v61
	global_store_dword v[4:5], v14, off
	v_mad_u64_u32 v[4:5], s[2:3], s8, v15, 0
	v_mov_b32_e32 v14, v5
	v_mad_u64_u32 v[14:15], s[2:3], s9, v15, v[14:15]
	v_mov_b32_e32 v5, v14
	v_lshl_add_u64 v[4:5], v[4:5], 2, v[8:9]
	v_pack_b32_f16 v14, v61, v34
	global_store_dword v[4:5], v14, off
	v_mad_u64_u32 v[4:5], s[2:3], s8, v13, 0
	v_mov_b32_e32 v14, v5
	v_mad_u64_u32 v[14:15], s[2:3], s9, v13, v[14:15]
	v_mov_b32_e32 v5, v14
	v_lshl_add_u64 v[4:5], v[4:5], 2, v[8:9]
	v_pack_b32_f16 v13, v29, v45
	global_store_dword v[4:5], v13, off
	v_add_u32_e32 v13, 0x88, v10
	v_mad_u64_u32 v[4:5], s[2:3], s8, v13, 0
	v_mov_b32_e32 v14, v5
	v_mad_u64_u32 v[14:15], s[2:3], s9, v13, v[14:15]
	v_mov_b32_e32 v5, v14
	v_lshl_add_u64 v[4:5], v[4:5], 2, v[8:9]
	v_pack_b32_f16 v13, v51, v46
	global_store_dword v[4:5], v13, off
	v_add_u32_e32 v13, 0xff, v10
	;; [unrolled: 8-line block ×4, first 2 shown]
	v_mad_u64_u32 v[4:5], s[2:3], s8, v13, 0
	v_mov_b32_e32 v14, v5
	v_mad_u64_u32 v[14:15], s[2:3], s9, v13, v[14:15]
	v_mov_b32_e32 v5, v14
	v_lshl_add_u64 v[4:5], v[4:5], 2, v[8:9]
	v_pack_b32_f16 v13, v62, v52
	s_mov_b32 s1, 0x44d72045
	global_store_dword v[4:5], v13, off
	v_mul_hi_u32 v4, v12, s1
	s_movk_i32 s0, 0x1dc
	v_lshrrev_b32_e32 v4, 5, v4
	v_mad_u32_u24 v14, v4, s0, v12
	v_mad_u64_u32 v[4:5], s[2:3], s8, v14, 0
	v_mov_b32_e32 v12, v5
	v_mad_u64_u32 v[12:13], s[2:3], s9, v14, v[12:13]
	v_mov_b32_e32 v5, v12
	v_lshl_add_u64 v[4:5], v[4:5], 2, v[8:9]
	v_pack_b32_f16 v12, v39, v54
	v_add_u32_e32 v13, 0x77, v14
	global_store_dword v[4:5], v12, off
	v_mad_u64_u32 v[4:5], s[2:3], s8, v13, 0
	v_mov_b32_e32 v12, v5
	v_mad_u64_u32 v[12:13], s[2:3], s9, v13, v[12:13]
	v_mov_b32_e32 v5, v12
	v_lshl_add_u64 v[4:5], v[4:5], 2, v[8:9]
	v_pack_b32_f16 v12, v84, v74
	v_add_u32_e32 v13, 0xee, v14
	global_store_dword v[4:5], v12, off
	;; [unrolled: 8-line block ×4, first 2 shown]
	v_mad_u64_u32 v[4:5], s[2:3], s8, v13, 0
	v_mov_b32_e32 v12, v5
	v_mad_u64_u32 v[12:13], s[2:3], s9, v13, v[12:13]
	v_mov_b32_e32 v5, v12
	v_lshl_add_u64 v[4:5], v[4:5], 2, v[8:9]
	v_pack_b32_f16 v12, v83, v72
	global_store_dword v[4:5], v12, off
	v_mul_hi_u32 v4, v11, s1
	v_lshrrev_b32_e32 v4, 5, v4
	v_mad_u32_u24 v11, v4, s0, v11
	v_mad_u64_u32 v[4:5], s[2:3], s8, v11, 0
	v_mov_b32_e32 v12, v5
	v_mad_u64_u32 v[12:13], s[2:3], s9, v11, v[12:13]
	v_mov_b32_e32 v5, v12
	v_lshl_add_u64 v[4:5], v[4:5], 2, v[8:9]
	v_pack_b32_f16 v12, v53, v71
	v_add_u32_e32 v13, 0x77, v11
	global_store_dword v[4:5], v12, off
	v_mad_u64_u32 v[4:5], s[2:3], s8, v13, 0
	v_mov_b32_e32 v12, v5
	v_mad_u64_u32 v[12:13], s[2:3], s9, v13, v[12:13]
	v_mov_b32_e32 v5, v12
	v_lshl_add_u64 v[4:5], v[4:5], 2, v[8:9]
	v_pack_b32_f16 v12, v77, v81
	v_add_u32_e32 v13, 0xee, v11
	global_store_dword v[4:5], v12, off
	;; [unrolled: 8-line block ×4, first 2 shown]
	v_mad_u64_u32 v[4:5], s[2:3], s8, v11, 0
	v_mov_b32_e32 v12, v5
	v_mad_u64_u32 v[12:13], s[2:3], s9, v11, v[12:13]
	v_mov_b32_e32 v5, v12
	v_lshl_add_u64 v[4:5], v[4:5], 2, v[8:9]
	v_pack_b32_f16 v11, v82, v76
	global_store_dword v[4:5], v11, off
	v_add_u32_e32 v4, 0x44, v10
	v_mul_hi_u32 v5, v4, s1
	v_lshrrev_b32_e32 v5, 5, v5
	v_mad_u32_u24 v12, v5, s0, v4
	v_mad_u64_u32 v[4:5], s[2:3], s8, v12, 0
	v_mov_b32_e32 v10, v5
	v_mad_u64_u32 v[10:11], s[2:3], s9, v12, v[10:11]
	v_mov_b32_e32 v5, v10
	v_lshl_add_u64 v[4:5], v[4:5], 2, v[8:9]
	v_pack_b32_f16 v10, v70, v80
	v_add_u32_e32 v11, 0x77, v12
	global_store_dword v[4:5], v10, off
	v_mad_u64_u32 v[4:5], s[2:3], s8, v11, 0
	v_mov_b32_e32 v10, v5
	v_mad_u64_u32 v[10:11], s[2:3], s9, v11, v[10:11]
	v_mov_b32_e32 v5, v10
	v_lshl_add_u64 v[4:5], v[4:5], 2, v[8:9]
	v_pack_b32_f16 v10, v65, v64
	v_add_u32_e32 v11, 0xee, v12
	global_store_dword v[4:5], v10, off
	;; [unrolled: 8-line block ×4, first 2 shown]
	v_mad_u64_u32 v[4:5], s[2:3], s8, v11, 0
	v_mov_b32_e32 v10, v5
	v_mad_u64_u32 v[10:11], s[2:3], s9, v11, v[10:11]
	v_mov_b32_e32 v5, v10
	v_lshl_add_u64 v[4:5], v[4:5], 2, v[8:9]
	v_pack_b32_f16 v10, v47, v44
	global_store_dword v[4:5], v10, off
	v_mul_hi_u32 v4, v7, s1
	v_lshrrev_b32_e32 v4, 5, v4
	v_mad_u32_u24 v7, v4, s0, v7
	v_mad_u64_u32 v[4:5], s[2:3], s8, v7, 0
	v_mov_b32_e32 v10, v5
	v_mad_u64_u32 v[10:11], s[2:3], s9, v7, v[10:11]
	v_mov_b32_e32 v5, v10
	v_lshl_add_u64 v[4:5], v[4:5], 2, v[8:9]
	v_pack_b32_f16 v10, v43, v41
	v_add_u32_e32 v11, 0x77, v7
	global_store_dword v[4:5], v10, off
	v_mad_u64_u32 v[4:5], s[2:3], s8, v11, 0
	v_mov_b32_e32 v10, v5
	v_mad_u64_u32 v[10:11], s[2:3], s9, v11, v[10:11]
	v_mov_b32_e32 v5, v10
	v_lshl_add_u64 v[4:5], v[4:5], 2, v[8:9]
	v_pack_b32_f16 v10, v17, v42
	v_add_u32_e32 v11, 0xee, v7
	global_store_dword v[4:5], v10, off
	;; [unrolled: 8-line block ×4, first 2 shown]
	v_mad_u64_u32 v[4:5], s[2:3], s8, v7, 0
	v_mov_b32_e32 v10, v5
	v_mad_u64_u32 v[10:11], s[2:3], s9, v7, v[10:11]
	v_mov_b32_e32 v5, v10
	v_lshl_add_u64 v[4:5], v[4:5], 2, v[8:9]
	v_pack_b32_f16 v7, v32, v19
	global_store_dword v[4:5], v7, off
	v_mul_hi_u32 v4, v6, s1
	v_lshrrev_b32_e32 v4, 5, v4
	v_mad_u32_u24 v10, v4, s0, v6
	v_mad_u64_u32 v[4:5], s[0:1], s8, v10, 0
	v_mov_b32_e32 v6, v5
	v_mad_u64_u32 v[6:7], s[0:1], s9, v10, v[6:7]
	v_mov_b32_e32 v5, v6
	v_lshl_add_u64 v[4:5], v[4:5], 2, v[8:9]
	v_pack_b32_f16 v6, v31, v22
	v_add_u32_e32 v7, 0x77, v10
	global_store_dword v[4:5], v6, off
	v_mad_u64_u32 v[4:5], s[0:1], s8, v7, 0
	v_mov_b32_e32 v6, v5
	v_mad_u64_u32 v[6:7], s[0:1], s9, v7, v[6:7]
	v_mov_b32_e32 v5, v6
	v_lshl_add_u64 v[4:5], v[4:5], 2, v[8:9]
	v_pack_b32_f16 v6, v16, v23
	v_add_u32_e32 v7, 0xee, v10
	global_store_dword v[4:5], v6, off
	v_mad_u64_u32 v[4:5], s[0:1], s8, v7, 0
	v_mov_b32_e32 v6, v5
	v_mad_u64_u32 v[6:7], s[0:1], s9, v7, v[6:7]
	v_mov_b32_e32 v5, v6
	v_lshl_add_u64 v[4:5], v[4:5], 2, v[8:9]
	global_store_dword v[4:5], v2, off
	v_add_u32_e32 v5, 0x165, v10
	v_mad_u64_u32 v[2:3], s[0:1], s8, v5, 0
	v_mov_b32_e32 v4, v3
	v_mad_u64_u32 v[4:5], s[0:1], s9, v5, v[4:5]
	v_mov_b32_e32 v3, v4
	v_lshl_add_u64 v[2:3], v[2:3], 2, v[8:9]
	v_pack_b32_f16 v4, v21, v20
	v_add_u32_e32 v5, 0x1dc, v10
	global_store_dword v[2:3], v4, off
	v_mad_u64_u32 v[2:3], s[0:1], s8, v5, 0
	v_mov_b32_e32 v4, v3
	v_mad_u64_u32 v[4:5], s[0:1], s9, v5, v[4:5]
	v_mov_b32_e32 v3, v4
	v_lshl_add_u64 v[2:3], v[2:3], 2, v[8:9]
	v_pack_b32_f16 v0, v1, v0
	global_store_dword v[2:3], v0, off
.LBB0_22:
	s_endpgm
	.section	.rodata,"a",@progbits
	.p2align	6, 0x0
	.amdhsa_kernel fft_rtc_back_len595_factors_7_17_5_wgs_51_tpt_17_halfLds_half_ip_CI_sbrr_dirReg
		.amdhsa_group_segment_fixed_size 0
		.amdhsa_private_segment_fixed_size 0
		.amdhsa_kernarg_size 88
		.amdhsa_user_sgpr_count 2
		.amdhsa_user_sgpr_dispatch_ptr 0
		.amdhsa_user_sgpr_queue_ptr 0
		.amdhsa_user_sgpr_kernarg_segment_ptr 1
		.amdhsa_user_sgpr_dispatch_id 0
		.amdhsa_user_sgpr_kernarg_preload_length 0
		.amdhsa_user_sgpr_kernarg_preload_offset 0
		.amdhsa_user_sgpr_private_segment_size 0
		.amdhsa_uses_dynamic_stack 0
		.amdhsa_enable_private_segment 0
		.amdhsa_system_sgpr_workgroup_id_x 1
		.amdhsa_system_sgpr_workgroup_id_y 0
		.amdhsa_system_sgpr_workgroup_id_z 0
		.amdhsa_system_sgpr_workgroup_info 0
		.amdhsa_system_vgpr_workitem_id 0
		.amdhsa_next_free_vgpr 157
		.amdhsa_next_free_sgpr 32
		.amdhsa_accum_offset 160
		.amdhsa_reserve_vcc 1
		.amdhsa_float_round_mode_32 0
		.amdhsa_float_round_mode_16_64 0
		.amdhsa_float_denorm_mode_32 3
		.amdhsa_float_denorm_mode_16_64 3
		.amdhsa_dx10_clamp 1
		.amdhsa_ieee_mode 1
		.amdhsa_fp16_overflow 0
		.amdhsa_tg_split 0
		.amdhsa_exception_fp_ieee_invalid_op 0
		.amdhsa_exception_fp_denorm_src 0
		.amdhsa_exception_fp_ieee_div_zero 0
		.amdhsa_exception_fp_ieee_overflow 0
		.amdhsa_exception_fp_ieee_underflow 0
		.amdhsa_exception_fp_ieee_inexact 0
		.amdhsa_exception_int_div_zero 0
	.end_amdhsa_kernel
	.text
.Lfunc_end0:
	.size	fft_rtc_back_len595_factors_7_17_5_wgs_51_tpt_17_halfLds_half_ip_CI_sbrr_dirReg, .Lfunc_end0-fft_rtc_back_len595_factors_7_17_5_wgs_51_tpt_17_halfLds_half_ip_CI_sbrr_dirReg
                                        ; -- End function
	.section	.AMDGPU.csdata,"",@progbits
; Kernel info:
; codeLenInByte = 29400
; NumSgprs: 38
; NumVgprs: 157
; NumAgprs: 0
; TotalNumVgprs: 157
; ScratchSize: 0
; MemoryBound: 0
; FloatMode: 240
; IeeeMode: 1
; LDSByteSize: 0 bytes/workgroup (compile time only)
; SGPRBlocks: 4
; VGPRBlocks: 19
; NumSGPRsForWavesPerEU: 38
; NumVGPRsForWavesPerEU: 157
; AccumOffset: 160
; Occupancy: 3
; WaveLimiterHint : 1
; COMPUTE_PGM_RSRC2:SCRATCH_EN: 0
; COMPUTE_PGM_RSRC2:USER_SGPR: 2
; COMPUTE_PGM_RSRC2:TRAP_HANDLER: 0
; COMPUTE_PGM_RSRC2:TGID_X_EN: 1
; COMPUTE_PGM_RSRC2:TGID_Y_EN: 0
; COMPUTE_PGM_RSRC2:TGID_Z_EN: 0
; COMPUTE_PGM_RSRC2:TIDIG_COMP_CNT: 0
; COMPUTE_PGM_RSRC3_GFX90A:ACCUM_OFFSET: 39
; COMPUTE_PGM_RSRC3_GFX90A:TG_SPLIT: 0
	.text
	.p2alignl 6, 3212836864
	.fill 256, 4, 3212836864
	.type	__hip_cuid_f56bbdd5562732e9,@object ; @__hip_cuid_f56bbdd5562732e9
	.section	.bss,"aw",@nobits
	.globl	__hip_cuid_f56bbdd5562732e9
__hip_cuid_f56bbdd5562732e9:
	.byte	0                               ; 0x0
	.size	__hip_cuid_f56bbdd5562732e9, 1

	.ident	"AMD clang version 19.0.0git (https://github.com/RadeonOpenCompute/llvm-project roc-6.4.0 25133 c7fe45cf4b819c5991fe208aaa96edf142730f1d)"
	.section	".note.GNU-stack","",@progbits
	.addrsig
	.addrsig_sym __hip_cuid_f56bbdd5562732e9
	.amdgpu_metadata
---
amdhsa.kernels:
  - .agpr_count:     0
    .args:
      - .actual_access:  read_only
        .address_space:  global
        .offset:         0
        .size:           8
        .value_kind:     global_buffer
      - .offset:         8
        .size:           8
        .value_kind:     by_value
      - .actual_access:  read_only
        .address_space:  global
        .offset:         16
        .size:           8
        .value_kind:     global_buffer
      - .actual_access:  read_only
        .address_space:  global
        .offset:         24
        .size:           8
        .value_kind:     global_buffer
      - .offset:         32
        .size:           8
        .value_kind:     by_value
      - .actual_access:  read_only
        .address_space:  global
        .offset:         40
        .size:           8
        .value_kind:     global_buffer
      - .actual_access:  read_only
        .address_space:  global
        .offset:         48
        .size:           8
        .value_kind:     global_buffer
      - .offset:         56
        .size:           4
        .value_kind:     by_value
      - .actual_access:  read_only
        .address_space:  global
        .offset:         64
        .size:           8
        .value_kind:     global_buffer
      - .actual_access:  read_only
        .address_space:  global
        .offset:         72
        .size:           8
        .value_kind:     global_buffer
      - .address_space:  global
        .offset:         80
        .size:           8
        .value_kind:     global_buffer
    .group_segment_fixed_size: 0
    .kernarg_segment_align: 8
    .kernarg_segment_size: 88
    .language:       OpenCL C
    .language_version:
      - 2
      - 0
    .max_flat_workgroup_size: 51
    .name:           fft_rtc_back_len595_factors_7_17_5_wgs_51_tpt_17_halfLds_half_ip_CI_sbrr_dirReg
    .private_segment_fixed_size: 0
    .sgpr_count:     38
    .sgpr_spill_count: 0
    .symbol:         fft_rtc_back_len595_factors_7_17_5_wgs_51_tpt_17_halfLds_half_ip_CI_sbrr_dirReg.kd
    .uniform_work_group_size: 1
    .uses_dynamic_stack: false
    .vgpr_count:     157
    .vgpr_spill_count: 0
    .wavefront_size: 64
amdhsa.target:   amdgcn-amd-amdhsa--gfx950
amdhsa.version:
  - 1
  - 2
...

	.end_amdgpu_metadata
